;; amdgpu-corpus repo=ROCm/aiter kind=harvested arch=n/a opt=n/a

/root/src/amdgpu-assembly/repos/ROCm__aiter/hsa/gfx942/fmoe_2stages/fmoe_stage1_bf16_pertokenFp8_g1u1_48x512_pf3.co:	file format elf64-amdgpu

Disassembly of section .text:

0000000000002a00 <_ZN5aiter44fmoe_stage1_bf16_pertokenFp8_g1u1_48x512_pf3E>:
	s_and_b32 s1, s1, 0xffff                                   // 000000002A00: 8601FF01 0000FFFF
	s_load_dwordx2 s[8:9], s[0:1], 0x0                         // 000000002A08: C0060200 00000000
	s_load_dwordx2 s[20:21], s[0:1], 0x10                      // 000000002A10: C0060500 00000010
	s_load_dwordx2 s[24:25], s[0:1], 0x20                      // 000000002A18: C0060600 00000020
	s_load_dwordx2 s[48:49], s[0:1], 0x30                      // 000000002A20: C0060C00 00000030
	s_load_dwordx2 s[28:29], s[0:1], 0x40                      // 000000002A28: C0060700 00000040
	s_load_dwordx2 s[32:33], s[0:1], 0x50                      // 000000002A30: C0060800 00000050
	s_load_dwordx2 s[36:37], s[0:1], 0x60                      // 000000002A38: C0060900 00000060
	s_load_dwordx2 s[12:13], s[0:1], 0x70                      // 000000002A40: C0060300 00000070
	s_load_dwordx2 s[44:45], s[0:1], 0x80                      // 000000002A48: C0060B00 00000080
	s_mov_b32 s89, 0                                           // 000000002A50: BED90080
	s_load_dword s64, s[0:1], 0x90                             // 000000002A54: C0021000 00000090
	s_load_dword s65, s[0:1], 0xa0                             // 000000002A5C: C0021040 000000A0
	s_load_dword s66, s[0:1], 0xb0                             // 000000002A64: C0021080 000000B0
	s_load_dword s67, s[0:1], 0xc0                             // 000000002A6C: C00210C0 000000C0
	s_load_dword s68, s[0:1], 0xd0                             // 000000002A74: C0021100 000000D0
	s_load_dword s69, s[0:1], 0xe0                             // 000000002A7C: C0021140 000000E0
	s_load_dword s71, s[0:1], 0xf0                             // 000000002A84: C00211C0 000000F0
	s_load_dword s72, s[0:1], 0x100                            // 000000002A8C: C0021200 00000100
	s_load_dword s74, s[0:1], 0x110                            // 000000002A94: C0021280 00000110
	s_load_dword s76, s[0:1], 0x120                            // 000000002A9C: C0021300 00000120
	s_load_dword s56, s[0:1], 0x130                            // 000000002AA4: C0020E00 00000130
	s_load_dword s88, s[0:1], 0x140                            // 000000002AAC: C0021600 00000140
	s_load_dword s89, s[0:1], 0x150                            // 000000002AB4: C0021640 00000150
	v_lshrrev_b32_e32 v1, 10, v0                               // 000000002ABC: 2002008A
	v_lshrrev_b32_e32 v2, 10, v1                               // 000000002AC0: 2004028A
	v_and_b32_e32 v2, 0x3ff, v2                                // 000000002AC4: 260404FF 000003FF
	v_and_b32_e32 v1, 0x3ff, v1                                // 000000002ACC: 260202FF 000003FF
	v_and_b32_e32 v0, 0x3ff, v0                                // 000000002AD4: 260000FF 000003FF
	v_lshrrev_b32_e32 v3, 6, v0                                // 000000002ADC: 20060086
	v_and_b32_e32 v0, 63, v0                                   // 000000002AE0: 260000BF
	s_mov_b32 s2, s2                                           // 000000002AE4: BE820002
	s_mov_b32 s3, s3                                           // 000000002AE8: BE830003
	s_mov_b32 s4, s4                                           // 000000002AEC: BE840004
	v_readfirstlane_b32 s7, v3                                 // 000000002AF0: 7E0E0503
	s_waitcnt lgkmcnt(0)                                       // 000000002AF4: BF8CC07F
	s_and_b32 s49, s49, 0xffff                                 // 000000002AF8: 8631FF31 0000FFFF
	s_load_dword s48, s[48:49], 0x0                            // 000000002B00: C0020C18 00000000
	s_and_b32 s45, s45, 0xffff                                 // 000000002B08: 862DFF2D 0000FFFF
	s_and_b32 s9, s9, 0xffff                                   // 000000002B10: 8609FF09 0000FFFF
	s_mul_i32 s60, s66, s68                                    // 000000002B18: 923C4442
	s_mul_i32 s61, s66, 4                                      // 000000002B1C: 923D8442
	s_mov_b32 s22, s60                                         // 000000002B20: BE96003C
	s_mov_b32 s26, -16                                         // 000000002B24: BE9A00D0
	s_mov_b32 s30, s61                                         // 000000002B28: BE9E003D
	s_mov_b32 s14, 0xc0                                        // 000000002B2C: BE8E00FF 000000C0
	s_mov_b32 s38, -16                                         // 000000002B34: BEA600D0
	s_mov_b32 s10, -16                                         // 000000002B38: BE8A00D0
	s_mov_b32 s34, 0x800                                       // 000000002B3C: BEA200FF 00000800
	s_mov_b32 s23, 0x20000                                     // 000000002B44: BE9700FF 00020000
	s_mov_b32 s27, 0x20000                                     // 000000002B4C: BE9B00FF 00020000
	s_mov_b32 s31, 0x20000                                     // 000000002B54: BE9F00FF 00020000
	s_mov_b32 s35, 0x20000                                     // 000000002B5C: BEA300FF 00020000
	s_mov_b32 s15, 0x20000                                     // 000000002B64: BE8F00FF 00020000
	s_mov_b32 s39, 0x20000                                     // 000000002B6C: BEA700FF 00020000
	s_mov_b32 s11, 0x20000                                     // 000000002B74: BE8B00FF 00020000
	s_and_b32 s21, s21, 0xffff                                 // 000000002B7C: 8615FF15 0000FFFF
	s_and_b32 s25, s25, 0xffff                                 // 000000002B84: 8619FF19 0000FFFF
	s_and_b32 s29, s29, 0xffff                                 // 000000002B8C: 861DFF1D 0000FFFF
	s_and_b32 s33, s33, 0xffff                                 // 000000002B94: 8621FF21 0000FFFF
	s_and_b32 s13, s13, 0xffff                                 // 000000002B9C: 860DFF0D 0000FFFF
	s_and_b32 s37, s37, 0xffff                                 // 000000002BA4: 8625FF25 0000FFFF
	s_or_b32 s21, s21, 0x40000                                 // 000000002BAC: 8715FF15 00040000
	s_or_b32 s25, s25, 0x40000                                 // 000000002BB4: 8719FF19 00040000
	s_or_b32 s29, s29, 0x40000                                 // 000000002BBC: 871DFF1D 00040000
	s_or_b32 s33, s33, 0x40000                                 // 000000002BC4: 8721FF21 00040000
	s_or_b32 s13, s13, 0x40000                                 // 000000002BCC: 870DFF0D 00040000
	s_or_b32 s37, s37, 0x40000                                 // 000000002BD4: 8725FF25 00040000
	v_accvgpr_write_b32 a239, 0                                // 000000002BDC: D3D940EF 18000080
	v_mov_b32_e32 v251, 0                                      // 000000002BE4: 7FF60280
	s_waitcnt lgkmcnt(0)                                       // 000000002BE8: BF8CC07F
	s_mul_i32 s60, s3, 48                                      // 000000002BEC: 923CB003
	s_cmp_lt_i32 s60, s48                                      // 000000002BF0: BF04303C
	s_cbranch_scc0 label_41C9                                  // 000000002BF4: BF844148
	s_mov_b32 s80, 0                                           // 000000002BF8: BED00080
	s_lshr_b32 s81, s64, s88                                   // 000000002BFC: 8F515840
	s_mul_i32 s60, s3, 4                                       // 000000002C00: 923C8403
	s_add_u32 s44, s60, s44                                    // 000000002C04: 802C2C3C
	s_addc_u32 s45, 0, s45                                     // 000000002C08: 822D2D80
	s_load_dword s5, s[44:45], 0x0                             // 000000002C0C: C0020156 00000000
	s_mul_i32 s60, s3, 48                                      // 000000002C14: 923CB003
	s_mul_i32 s60, 4, s60                                      // 000000002C18: 923C3C84
	s_add_u32 s12, s60, s12                                    // 000000002C1C: 800C0C3C
	s_addc_u32 s13, 0, s13                                     // 000000002C20: 820D0D80
	v_and_b32_e32 v4, 15, v0                                   // 000000002C24: 2608008F
	v_lshlrev_b32_e32 v4, 2, v4                                // 000000002C28: 24080882
	buffer_load_dword v31, v4, s[12:15], 0 offen               // 000000002C2C: E0501000 80031F04
	v_add_u32_e32 v4, 64, v4                                   // 000000002C34: 680808C0
	buffer_load_dword v32, v4, s[12:15], 0 offen               // 000000002C38: E0501000 80032004
	v_add_u32_e32 v4, 64, v4                                   // 000000002C40: 680808C0
	buffer_load_dword v33, v4, s[12:15], 0 offen               // 000000002C44: E0501000 80032104
	v_add_u32_e32 v4, 64, v4                                   // 000000002C4C: 680808C0
	s_mul_i32 s60, 4, s7                                       // 000000002C50: 923C0784
	v_lshlrev_b32_e32 v4, 4, v0                                // 000000002C54: 24080084
	v_add_u32_e32 v4, s60, v4                                  // 000000002C58: 6808083C
	buffer_load_dword v3, v4, s[12:15], 0 offen                // 000000002C5C: E0501000 80030304
	v_mov_b32_e32 v60, 0                                       // 000000002C64: 7E780280
	v_mov_b32_e32 v156, 0                                      // 000000002C68: 7F380280
	v_mov_b32_e32 v61, 0                                       // 000000002C6C: 7E7A0280
	v_mov_b32_e32 v157, 0                                      // 000000002C70: 7F3A0280
	v_mov_b32_e32 v62, 0                                       // 000000002C74: 7E7C0280
	v_mov_b32_e32 v158, 0                                      // 000000002C78: 7F3C0280
	v_mov_b32_e32 v63, 0                                       // 000000002C7C: 7E7E0280
	v_mov_b32_e32 v159, 0                                      // 000000002C80: 7F3E0280
	v_mov_b32_e32 v64, 0                                       // 000000002C84: 7E800280
	v_mov_b32_e32 v160, 0                                      // 000000002C88: 7F400280
	v_mov_b32_e32 v65, 0                                       // 000000002C8C: 7E820280
	v_mov_b32_e32 v161, 0                                      // 000000002C90: 7F420280
	v_mov_b32_e32 v66, 0                                       // 000000002C94: 7E840280
	v_mov_b32_e32 v162, 0                                      // 000000002C98: 7F440280
	v_mov_b32_e32 v67, 0                                       // 000000002C9C: 7E860280
	v_mov_b32_e32 v163, 0                                      // 000000002CA0: 7F460280
	v_mov_b32_e32 v68, 0                                       // 000000002CA4: 7E880280
	v_mov_b32_e32 v164, 0                                      // 000000002CA8: 7F480280
	v_mov_b32_e32 v69, 0                                       // 000000002CAC: 7E8A0280
	v_mov_b32_e32 v165, 0                                      // 000000002CB0: 7F4A0280
	v_mov_b32_e32 v70, 0                                       // 000000002CB4: 7E8C0280
	v_mov_b32_e32 v166, 0                                      // 000000002CB8: 7F4C0280
	v_mov_b32_e32 v71, 0                                       // 000000002CBC: 7E8E0280
	v_mov_b32_e32 v167, 0                                      // 000000002CC0: 7F4E0280
	v_mov_b32_e32 v72, 0                                       // 000000002CC4: 7E900280
	v_mov_b32_e32 v168, 0                                      // 000000002CC8: 7F500280
	v_mov_b32_e32 v73, 0                                       // 000000002CCC: 7E920280
	v_mov_b32_e32 v169, 0                                      // 000000002CD0: 7F520280
	v_mov_b32_e32 v74, 0                                       // 000000002CD4: 7E940280
	v_mov_b32_e32 v170, 0                                      // 000000002CD8: 7F540280
	v_mov_b32_e32 v75, 0                                       // 000000002CDC: 7E960280
	v_mov_b32_e32 v171, 0                                      // 000000002CE0: 7F560280
	v_mov_b32_e32 v76, 0                                       // 000000002CE4: 7E980280
	v_mov_b32_e32 v172, 0                                      // 000000002CE8: 7F580280
	v_mov_b32_e32 v77, 0                                       // 000000002CEC: 7E9A0280
	v_mov_b32_e32 v173, 0                                      // 000000002CF0: 7F5A0280
	v_mov_b32_e32 v78, 0                                       // 000000002CF4: 7E9C0280
	v_mov_b32_e32 v174, 0                                      // 000000002CF8: 7F5C0280
	v_mov_b32_e32 v79, 0                                       // 000000002CFC: 7E9E0280
	v_mov_b32_e32 v175, 0                                      // 000000002D00: 7F5E0280
	v_mov_b32_e32 v80, 0                                       // 000000002D04: 7EA00280
	v_mov_b32_e32 v176, 0                                      // 000000002D08: 7F600280
	v_mov_b32_e32 v81, 0                                       // 000000002D0C: 7EA20280
	v_mov_b32_e32 v177, 0                                      // 000000002D10: 7F620280
	v_mov_b32_e32 v82, 0                                       // 000000002D14: 7EA40280
	v_mov_b32_e32 v178, 0                                      // 000000002D18: 7F640280
	v_mov_b32_e32 v83, 0                                       // 000000002D1C: 7EA60280
	v_mov_b32_e32 v179, 0                                      // 000000002D20: 7F660280
	v_mov_b32_e32 v84, 0                                       // 000000002D24: 7EA80280
	v_mov_b32_e32 v180, 0                                      // 000000002D28: 7F680280
	v_mov_b32_e32 v85, 0                                       // 000000002D2C: 7EAA0280
	v_mov_b32_e32 v181, 0                                      // 000000002D30: 7F6A0280
	v_mov_b32_e32 v86, 0                                       // 000000002D34: 7EAC0280
	v_mov_b32_e32 v182, 0                                      // 000000002D38: 7F6C0280
	v_mov_b32_e32 v87, 0                                       // 000000002D3C: 7EAE0280
	v_mov_b32_e32 v183, 0                                      // 000000002D40: 7F6E0280
	v_mov_b32_e32 v88, 0                                       // 000000002D44: 7EB00280
	v_mov_b32_e32 v184, 0                                      // 000000002D48: 7F700280
	v_mov_b32_e32 v89, 0                                       // 000000002D4C: 7EB20280
	v_mov_b32_e32 v185, 0                                      // 000000002D50: 7F720280
	v_mov_b32_e32 v90, 0                                       // 000000002D54: 7EB40280
	v_mov_b32_e32 v186, 0                                      // 000000002D58: 7F740280
	v_mov_b32_e32 v91, 0                                       // 000000002D5C: 7EB60280
	v_mov_b32_e32 v187, 0                                      // 000000002D60: 7F760280
	v_mov_b32_e32 v92, 0                                       // 000000002D64: 7EB80280
	v_mov_b32_e32 v188, 0                                      // 000000002D68: 7F780280
	v_mov_b32_e32 v93, 0                                       // 000000002D6C: 7EBA0280
	v_mov_b32_e32 v189, 0                                      // 000000002D70: 7F7A0280
	v_mov_b32_e32 v94, 0                                       // 000000002D74: 7EBC0280
	v_mov_b32_e32 v190, 0                                      // 000000002D78: 7F7C0280
	v_mov_b32_e32 v95, 0                                       // 000000002D7C: 7EBE0280
	v_mov_b32_e32 v191, 0                                      // 000000002D80: 7F7E0280
	v_mov_b32_e32 v96, 0                                       // 000000002D84: 7EC00280
	v_mov_b32_e32 v192, 0                                      // 000000002D88: 7F800280
	v_mov_b32_e32 v97, 0                                       // 000000002D8C: 7EC20280
	v_mov_b32_e32 v193, 0                                      // 000000002D90: 7F820280
	v_mov_b32_e32 v98, 0                                       // 000000002D94: 7EC40280
	v_mov_b32_e32 v194, 0                                      // 000000002D98: 7F840280
	v_mov_b32_e32 v99, 0                                       // 000000002D9C: 7EC60280
	v_mov_b32_e32 v195, 0                                      // 000000002DA0: 7F860280
	v_mov_b32_e32 v100, 0                                      // 000000002DA4: 7EC80280
	v_mov_b32_e32 v196, 0                                      // 000000002DA8: 7F880280
	v_mov_b32_e32 v101, 0                                      // 000000002DAC: 7ECA0280
	v_mov_b32_e32 v197, 0                                      // 000000002DB0: 7F8A0280
	v_mov_b32_e32 v102, 0                                      // 000000002DB4: 7ECC0280
	v_mov_b32_e32 v198, 0                                      // 000000002DB8: 7F8C0280
	v_mov_b32_e32 v103, 0                                      // 000000002DBC: 7ECE0280
	v_mov_b32_e32 v199, 0                                      // 000000002DC0: 7F8E0280
	v_mov_b32_e32 v104, 0                                      // 000000002DC4: 7ED00280
	v_mov_b32_e32 v200, 0                                      // 000000002DC8: 7F900280
	v_mov_b32_e32 v105, 0                                      // 000000002DCC: 7ED20280
	v_mov_b32_e32 v201, 0                                      // 000000002DD0: 7F920280
	v_mov_b32_e32 v106, 0                                      // 000000002DD4: 7ED40280
	v_mov_b32_e32 v202, 0                                      // 000000002DD8: 7F940280
	v_mov_b32_e32 v107, 0                                      // 000000002DDC: 7ED60280
	v_mov_b32_e32 v203, 0                                      // 000000002DE0: 7F960280
	v_mov_b32_e32 v108, 0                                      // 000000002DE4: 7ED80280
	v_mov_b32_e32 v204, 0                                      // 000000002DE8: 7F980280
	v_mov_b32_e32 v109, 0                                      // 000000002DEC: 7EDA0280
	v_mov_b32_e32 v205, 0                                      // 000000002DF0: 7F9A0280
	v_mov_b32_e32 v110, 0                                      // 000000002DF4: 7EDC0280
	v_mov_b32_e32 v206, 0                                      // 000000002DF8: 7F9C0280
	v_mov_b32_e32 v111, 0                                      // 000000002DFC: 7EDE0280
	v_mov_b32_e32 v207, 0                                      // 000000002E00: 7F9E0280
	v_mov_b32_e32 v112, 0                                      // 000000002E04: 7EE00280
	v_mov_b32_e32 v208, 0                                      // 000000002E08: 7FA00280
	v_mov_b32_e32 v113, 0                                      // 000000002E0C: 7EE20280
	v_mov_b32_e32 v209, 0                                      // 000000002E10: 7FA20280
	v_mov_b32_e32 v114, 0                                      // 000000002E14: 7EE40280
	v_mov_b32_e32 v210, 0                                      // 000000002E18: 7FA40280
	v_mov_b32_e32 v115, 0                                      // 000000002E1C: 7EE60280
	v_mov_b32_e32 v211, 0                                      // 000000002E20: 7FA60280
	v_mov_b32_e32 v116, 0                                      // 000000002E24: 7EE80280
	v_mov_b32_e32 v212, 0                                      // 000000002E28: 7FA80280
	v_mov_b32_e32 v117, 0                                      // 000000002E2C: 7EEA0280
	v_mov_b32_e32 v213, 0                                      // 000000002E30: 7FAA0280
	v_mov_b32_e32 v118, 0                                      // 000000002E34: 7EEC0280
	v_mov_b32_e32 v214, 0                                      // 000000002E38: 7FAC0280
	v_mov_b32_e32 v119, 0                                      // 000000002E3C: 7EEE0280
	v_mov_b32_e32 v215, 0                                      // 000000002E40: 7FAE0280
	v_mov_b32_e32 v120, 0                                      // 000000002E44: 7EF00280
	v_mov_b32_e32 v216, 0                                      // 000000002E48: 7FB00280
	v_mov_b32_e32 v121, 0                                      // 000000002E4C: 7EF20280
	v_mov_b32_e32 v217, 0                                      // 000000002E50: 7FB20280
	v_mov_b32_e32 v122, 0                                      // 000000002E54: 7EF40280
	v_mov_b32_e32 v218, 0                                      // 000000002E58: 7FB40280
	v_mov_b32_e32 v123, 0                                      // 000000002E5C: 7EF60280
	v_mov_b32_e32 v219, 0                                      // 000000002E60: 7FB60280
	v_mov_b32_e32 v124, 0                                      // 000000002E64: 7EF80280
	v_mov_b32_e32 v220, 0                                      // 000000002E68: 7FB80280
	v_mov_b32_e32 v125, 0                                      // 000000002E6C: 7EFA0280
	v_mov_b32_e32 v221, 0                                      // 000000002E70: 7FBA0280
	v_mov_b32_e32 v126, 0                                      // 000000002E74: 7EFC0280
	v_mov_b32_e32 v222, 0                                      // 000000002E78: 7FBC0280
	v_mov_b32_e32 v127, 0                                      // 000000002E7C: 7EFE0280
	v_mov_b32_e32 v223, 0                                      // 000000002E80: 7FBE0280
	v_mov_b32_e32 v128, 0                                      // 000000002E84: 7F000280
	v_mov_b32_e32 v224, 0                                      // 000000002E88: 7FC00280
	v_mov_b32_e32 v129, 0                                      // 000000002E8C: 7F020280
	v_mov_b32_e32 v225, 0                                      // 000000002E90: 7FC20280
	v_mov_b32_e32 v130, 0                                      // 000000002E94: 7F040280
	v_mov_b32_e32 v226, 0                                      // 000000002E98: 7FC40280
	v_mov_b32_e32 v131, 0                                      // 000000002E9C: 7F060280
	v_mov_b32_e32 v227, 0                                      // 000000002EA0: 7FC60280
	v_mov_b32_e32 v132, 0                                      // 000000002EA4: 7F080280
	v_mov_b32_e32 v228, 0                                      // 000000002EA8: 7FC80280
	v_mov_b32_e32 v133, 0                                      // 000000002EAC: 7F0A0280
	v_mov_b32_e32 v229, 0                                      // 000000002EB0: 7FCA0280
	v_mov_b32_e32 v134, 0                                      // 000000002EB4: 7F0C0280
	v_mov_b32_e32 v230, 0                                      // 000000002EB8: 7FCC0280
	v_mov_b32_e32 v135, 0                                      // 000000002EBC: 7F0E0280
	v_mov_b32_e32 v231, 0                                      // 000000002EC0: 7FCE0280
	v_mov_b32_e32 v136, 0                                      // 000000002EC4: 7F100280
	v_mov_b32_e32 v232, 0                                      // 000000002EC8: 7FD00280
	v_mov_b32_e32 v137, 0                                      // 000000002ECC: 7F120280
	v_mov_b32_e32 v233, 0                                      // 000000002ED0: 7FD20280
	v_mov_b32_e32 v138, 0                                      // 000000002ED4: 7F140280
	v_mov_b32_e32 v234, 0                                      // 000000002ED8: 7FD40280
	v_mov_b32_e32 v139, 0                                      // 000000002EDC: 7F160280
	v_mov_b32_e32 v235, 0                                      // 000000002EE0: 7FD60280
	v_mov_b32_e32 v140, 0                                      // 000000002EE4: 7F180280
	v_mov_b32_e32 v236, 0                                      // 000000002EE8: 7FD80280
	v_mov_b32_e32 v141, 0                                      // 000000002EEC: 7F1A0280
	v_mov_b32_e32 v237, 0                                      // 000000002EF0: 7FDA0280
	v_mov_b32_e32 v142, 0                                      // 000000002EF4: 7F1C0280
	v_mov_b32_e32 v238, 0                                      // 000000002EF8: 7FDC0280
	v_mov_b32_e32 v143, 0                                      // 000000002EFC: 7F1E0280
	v_mov_b32_e32 v239, 0                                      // 000000002F00: 7FDE0280
	v_mov_b32_e32 v144, 0                                      // 000000002F04: 7F200280
	v_mov_b32_e32 v240, 0                                      // 000000002F08: 7FE00280
	v_mov_b32_e32 v145, 0                                      // 000000002F0C: 7F220280
	v_mov_b32_e32 v241, 0                                      // 000000002F10: 7FE20280
	v_mov_b32_e32 v146, 0                                      // 000000002F14: 7F240280
	v_mov_b32_e32 v242, 0                                      // 000000002F18: 7FE40280
	v_mov_b32_e32 v147, 0                                      // 000000002F1C: 7F260280
	v_mov_b32_e32 v243, 0                                      // 000000002F20: 7FE60280
	v_mov_b32_e32 v148, 0                                      // 000000002F24: 7F280280
	v_mov_b32_e32 v244, 0                                      // 000000002F28: 7FE80280
	v_mov_b32_e32 v149, 0                                      // 000000002F2C: 7F2A0280
	v_mov_b32_e32 v245, 0                                      // 000000002F30: 7FEA0280
	v_mov_b32_e32 v150, 0                                      // 000000002F34: 7F2C0280
	v_mov_b32_e32 v246, 0                                      // 000000002F38: 7FEC0280
	v_mov_b32_e32 v151, 0                                      // 000000002F3C: 7F2E0280
	v_mov_b32_e32 v247, 0                                      // 000000002F40: 7FEE0280
	v_mov_b32_e32 v152, 0                                      // 000000002F44: 7F300280
	v_mov_b32_e32 v248, 0                                      // 000000002F48: 7FF00280
	v_mov_b32_e32 v153, 0                                      // 000000002F4C: 7F320280
	v_mov_b32_e32 v249, 0                                      // 000000002F50: 7FF20280
	v_mov_b32_e32 v154, 0                                      // 000000002F54: 7F340280
	v_mov_b32_e32 v250, 0                                      // 000000002F58: 7FF40280
	v_mov_b32_e32 v155, 0                                      // 000000002F5C: 7F360280
	v_mov_b32_e32 v251, 0                                      // 000000002F60: 7FF60280
	s_mul_i32 s60, s2, 0x400                                   // 000000002F64: 923CFF02 00000400
	s_cmp_eq_u32 s88, 0                                        // 000000002F6C: BF068058
	s_cselect_b32 s61, 1, 2                                    // 000000002F70: 853D8281
	s_mul_i32 s60, s60, s61                                    // 000000002F74: 923C3D3C
	s_mov_b32 s90, s8                                          // 000000002F78: BEDA0008
	s_mov_b32 s91, s9                                          // 000000002F7C: BEDB0009
	s_add_u32 s8, s60, s8                                      // 000000002F80: 8008083C
	s_addc_u32 s9, 0, s9                                       // 000000002F84: 82090980
	v_lshrrev_b32_e32 v4, 4, v0                                // 000000002F88: 20080084
	v_mul_lo_u32 v20, 34, v4                                   // 000000002F8C: D2850014 000208A2
	v_and_b32_e32 v4, 15, v0                                   // 000000002F94: 2608008F
	v_mul_lo_u32 v5, 2, v4                                     // 000000002F98: D2850005 00020882
	v_add_u32_e32 v20, v5, v20                                 // 000000002FA0: 68282905
	s_mul_i32 s60, s7, 0x88                                    // 000000002FA4: 923CFF07 00000088
	v_add_u32_e32 v20, s60, v20                                // 000000002FAC: 6828283C
	v_lshlrev_b32_e32 v20, 2, v20                              // 000000002FB0: 24282882
	v_and_b32_e32 v4, 31, v0                                   // 000000002FB4: 2608009F
	v_lshrrev_b32_e32 v4, 1, v4                                // 000000002FB8: 20080881
	v_mul_lo_u32 v21, 34, v4                                   // 000000002FBC: D2850015 000208A2
	v_lshrrev_b32_e32 v4, 5, v0                                // 000000002FC4: 20080085
	v_mul_lo_u32 v4, 8, v4                                     // 000000002FC8: D2850004 00020888
	v_add_u32_e32 v21, v21, v4                                 // 000000002FD0: 682A0915
	v_and_b32_e32 v5, 1, v0                                    // 000000002FD4: 260A0081
	v_add_u32_e32 v21, v5, v21                                 // 000000002FD8: 682A2B05
	s_mul_i32 s60, s7, 2                                       // 000000002FDC: 923C8207
	v_add_u32_e32 v21, s60, v21                                // 000000002FE0: 682A2A3C
	v_lshlrev_b32_e32 v21, 2, v21                              // 000000002FE4: 242A2A82
	s_mul_i32 s60, s7, 0x620                                   // 000000002FE8: 923CFF07 00000620
	s_add_u32 s48, 0, s60                                      // 000000002FF0: 80303C80
	s_add_u32 s49, 0x1880, s48                                 // 000000002FF4: 803130FF 00001880
	s_add_u32 s50, 0x1880, s49                                 // 000000002FFC: 803231FF 00001880
	v_lshrrev_b32_e32 v4, 4, v0                                // 000000003004: 20080084
	v_lshlrev_b32_e32 v5, 2, v4                                // 000000003008: 240A0882
	v_and_b32_e32 v4, 15, v0                                   // 00000000300C: 2608008F
	v_lshrrev_b32_e32 v6, 2, v4                                // 000000003010: 200C0882
	v_lshlrev_b32_e32 v6, 5, v6                                // 000000003014: 240C0C85
	v_add_u32_e32 v5, v6, v5                                   // 000000003018: 680A0B06
	v_and_b32_e32 v4, 3, v0                                    // 00000000301C: 26080083
	v_mul_u32_u24_e32 v6, 0x188, v4                            // 000000003020: 100C08FF 00000188
	v_add_u32_e32 v5, v6, v5                                   // 000000003028: 680A0B06
	v_lshlrev_b32_e32 v2, 2, v5                                // 00000000302C: 24040A82
	s_waitcnt lgkmcnt(0)                                       // 000000003030: BF8CC07F
	s_mul_i32 s60, s2, 0x200                                   // 000000003034: 923CFF02 00000200
	s_mul_i32 s60, s60, s69                                    // 00000000303C: 923C453C
	s_mul_i32 s61, s5, s72                                     // 000000003040: 923D4805
	s_add_u32 s60, s61, s60                                    // 000000003044: 803C3C3D
	s_add_u32 s24, s60, s24                                    // 000000003048: 8018183C
	s_addc_u32 s25, 0, s25                                     // 00000000304C: 82191980
	s_lshr_b32 s60, s64, s88                                   // 000000003050: 8F3C5840
	s_mul_i32 s60, s4, s60                                     // 000000003054: 923C3C04
	s_lshr_b32 s60, s60, 7                                     // 000000003058: 8F3C873C
	s_mul_i32 s60, s60, 0x800                                  // 00000000305C: 923CFF3C 00000800
	s_add_u32 s24, s60, s24                                    // 000000003064: 8018183C
	s_addc_u32 s25, 0, s25                                     // 000000003068: 82191980
	s_lshr_b32 s60, s69, s88                                   // 00000000306C: 8F3C5845
	s_mul_i32 s60, s4, s60                                     // 000000003070: 923C3C04
	s_add_u32 s20, s60, s20                                    // 000000003074: 8014143C
	s_addc_u32 s21, 0, s21                                     // 000000003078: 82151580
	s_mul_i32 s60, s7, 16                                      // 00000000307C: 923C9007
	s_mul_i32 s60, s60, s69                                    // 000000003080: 923C453C
	v_lshlrev_b32_e32 v49, 4, v0                               // 000000003084: 24620084
	v_add_u32_e32 v49, s60, v49                                // 000000003088: 6862623C
	s_mul_i32 s60, 64, s69                                     // 00000000308C: 923C45C0
	v_add_u32_e32 v50, s60, v49                                // 000000003090: 6864623C
	v_add_u32_e32 v51, s60, v50                                // 000000003094: 6866643C
	v_add_u32_e32 v52, s60, v51                                // 000000003098: 6868663C
	v_add_u32_e32 v53, s60, v52                                // 00000000309C: 686A683C
	v_add_u32_e32 v54, s60, v53                                // 0000000030A0: 686C6A3C
	v_add_u32_e32 v55, s60, v54                                // 0000000030A4: 686E6C3C
	v_add_u32_e32 v56, s60, v55                                // 0000000030A8: 68706E3C
	s_mov_b32 s84, s24                                         // 0000000030AC: BED40018
	s_mov_b32 s85, s25                                         // 0000000030B0: BED50019
	s_mov_b32 s86, s26                                         // 0000000030B4: BED6001A
	s_mov_b32 s87, s27                                         // 0000000030B8: BED7001B
	s_mul_i32 s60, s69, s65                                    // 0000000030BC: 923C4145
	s_add_u32 s84, s60, s84                                    // 0000000030C0: 8054543C
	s_addc_u32 s85, 0, s85                                     // 0000000030C4: 82555580
	v_lshrrev_b32_e32 v4, 4, v0                                // 0000000030C8: 20080084
	v_lshlrev_b32_e32 v5, 2, v4                                // 0000000030CC: 240A0882
	v_and_b32_e32 v4, 15, v0                                   // 0000000030D0: 2608008F
	v_lshrrev_b32_e32 v6, 2, v4                                // 0000000030D4: 200C0882
	v_lshlrev_b32_e32 v6, 6, v6                                // 0000000030D8: 240C0C86
	v_add_u32_e32 v5, v6, v5                                   // 0000000030DC: 680A0B06
	v_and_b32_e32 v4, 3, v0                                    // 0000000030E0: 26080083
	v_add_u32_e32 v5, v4, v5                                   // 0000000030E4: 680A0B04
	v_lshlrev_b32_e32 v22, 2, v5                               // 0000000030E8: 242C0A82
	v_add_u32_e32 v23, 0x400, v22                              // 0000000030EC: 682E2CFF 00000400
	s_mul_i32 s60, s7, 16                                      // 0000000030F4: 923C9007
	s_mul_i32 s60, s60, 4                                      // 0000000030F8: 923C843C
	v_add_u32_e32 v22, s60, v22                                // 0000000030FC: 682C2C3C
	v_add_u32_e32 v23, s60, v23                                // 000000003100: 682E2E3C
	s_mul_i32 s60, s2, 0x200                                   // 000000003104: 923CFF02 00000200
	s_mul_i32 s60, s60, 4                                      // 00000000310C: 923C843C
	s_mul_i32 s61, s5, s74                                     // 000000003110: 923D4A05
	s_add_u32 s61, s61, s60                                    // 000000003114: 803D3C3D
	s_add_u32 s32, s61, s32                                    // 000000003118: 8020203D
	s_addc_u32 s33, 0, s33                                     // 00000000311C: 82212180
	s_mov_b32 s57, 0x80                                        // 000000003120: BEB900FF 00000080
	s_mov_b32 s58, 0x800                                       // 000000003128: BEBA00FF 00000800
	s_mov_b32 s83, s58                                         // 000000003130: BED3003A
	s_mov_b32 s52, 0x7060302                                   // 000000003134: BEB400FF 07060302
	s_mov_b32 s53, 0x400                                       // 00000000313C: BEB500FF 00000400
	s_mov_b32 s54, 0x40100                                     // 000000003144: BEB600FF 00040100
	s_mov_b32 s55, 0x4020100                                   // 00000000314C: BEB700FF 04020100
	s_mov_b32 s6, 0x3fb8aa3b                                   // 000000003154: BE8600FF 3FB8AA3B
	s_mov_b32 s78, 0xbd92220c                                  // 00000000315C: BECE00FF BD92220C
	s_mov_b32 s79, 0xbd92220c                                  // 000000003164: BECF00FF BD92220C
	s_mov_b32 m0, s48                                          // 00000000316C: BEFC0030
	v_mov_b32_e32 v1, 0xbfcc4231                               // 000000003170: 7E0202FF BFCC4231
	v_mov_b32_e32 v17, 0xffff0000                              // 000000003178: 7E2202FF FFFF0000
	v_mov_b32_e32 v18, 0x7fff0000                              // 000000003180: 7E2402FF 7FFF0000
	v_mov_b32_e32 v19, 0x7fff                                  // 000000003188: 7E2602FF 00007FFF
	s_waitcnt vmcnt(0) expcnt(0) lgkmcnt(0)                    // 000000003190: BF8C0000
	v_lshrrev_b32_e32 v4, 5, v0                                // 000000003194: 20080085
	v_xor_b32_e32 v5, 1, v4                                    // 000000003198: 2A0A0881
	v_readlane_b32 s82, v3, 0                                  // 00000000319C: D2890052 00010103
	s_and_b32 s82, s82, 0xffffff                               // 0000000031A4: 8652FF52 00FFFFFF
	v_mul_lo_u32 v6, v5, s82                                   // 0000000031AC: D2850006 0000A505
	v_readlane_b32 s82, v3, 1                                  // 0000000031B4: D2890052 00010303
	s_and_b32 s82, s82, 0xffffff                               // 0000000031BC: 8652FF52 00FFFFFF
	v_mul_lo_u32 v7, v4, s82                                   // 0000000031C4: D2850007 0000A504
	v_add_u32_e32 v43, v6, v7                                  // 0000000031CC: 68560F06
	v_mul_lo_u32 v43, v43, s68                                 // 0000000031D0: D285002B 0000892B
	v_readlane_b32 s82, v3, 2                                  // 0000000031D8: D2890052 00010503
	s_and_b32 s82, s82, 0xffffff                               // 0000000031E0: 8652FF52 00FFFFFF
	v_mul_lo_u32 v6, v5, s82                                   // 0000000031E8: D2850006 0000A505
	v_readlane_b32 s82, v3, 3                                  // 0000000031F0: D2890052 00010703
	s_and_b32 s82, s82, 0xffffff                               // 0000000031F8: 8652FF52 00FFFFFF
	v_mul_lo_u32 v7, v4, s82                                   // 000000003200: D2850007 0000A504
	v_add_u32_e32 v44, v6, v7                                  // 000000003208: 68580F06
	v_mul_lo_u32 v44, v44, s68                                 // 00000000320C: D285002C 0000892C
	v_readlane_b32 s82, v3, 4                                  // 000000003214: D2890052 00010903
	s_and_b32 s82, s82, 0xffffff                               // 00000000321C: 8652FF52 00FFFFFF
	v_mul_lo_u32 v6, v5, s82                                   // 000000003224: D2850006 0000A505
	v_readlane_b32 s82, v3, 5                                  // 00000000322C: D2890052 00010B03
	s_and_b32 s82, s82, 0xffffff                               // 000000003234: 8652FF52 00FFFFFF
	v_mul_lo_u32 v7, v4, s82                                   // 00000000323C: D2850007 0000A504
	v_add_u32_e32 v45, v6, v7                                  // 000000003244: 685A0F06
	v_mul_lo_u32 v45, v45, s68                                 // 000000003248: D285002D 0000892D
	v_readlane_b32 s82, v3, 6                                  // 000000003250: D2890052 00010D03
	s_and_b32 s82, s82, 0xffffff                               // 000000003258: 8652FF52 00FFFFFF
	v_mul_lo_u32 v6, v5, s82                                   // 000000003260: D2850006 0000A505
	v_readlane_b32 s82, v3, 7                                  // 000000003268: D2890052 00010F03
	s_and_b32 s82, s82, 0xffffff                               // 000000003270: 8652FF52 00FFFFFF
	v_mul_lo_u32 v7, v4, s82                                   // 000000003278: D2850007 0000A504
	v_add_u32_e32 v46, v6, v7                                  // 000000003280: 685C0F06
	v_mul_lo_u32 v46, v46, s68                                 // 000000003284: D285002E 0000892E
	v_readlane_b32 s82, v3, 8                                  // 00000000328C: D2890052 00011103
	s_and_b32 s82, s82, 0xffffff                               // 000000003294: 8652FF52 00FFFFFF
	v_mul_lo_u32 v6, v5, s82                                   // 00000000329C: D2850006 0000A505
	v_readlane_b32 s82, v3, 9                                  // 0000000032A4: D2890052 00011303
	s_and_b32 s82, s82, 0xffffff                               // 0000000032AC: 8652FF52 00FFFFFF
	v_mul_lo_u32 v7, v4, s82                                   // 0000000032B4: D2850007 0000A504
	v_add_u32_e32 v47, v6, v7                                  // 0000000032BC: 685E0F06
	v_mul_lo_u32 v47, v47, s68                                 // 0000000032C0: D285002F 0000892F
	v_readlane_b32 s82, v3, 10                                 // 0000000032C8: D2890052 00011503
	s_and_b32 s82, s82, 0xffffff                               // 0000000032D0: 8652FF52 00FFFFFF
	v_mul_lo_u32 v6, v5, s82                                   // 0000000032D8: D2850006 0000A505
	v_readlane_b32 s82, v3, 11                                 // 0000000032E0: D2890052 00011703
	s_and_b32 s82, s82, 0xffffff                               // 0000000032E8: 8652FF52 00FFFFFF
	v_mul_lo_u32 v7, v4, s82                                   // 0000000032F0: D2850007 0000A504
	v_add_u32_e32 v48, v6, v7                                  // 0000000032F8: 68600F06
	v_mul_lo_u32 v48, v48, s68                                 // 0000000032FC: D2850030 00008930
	v_and_b32_e32 v4, 31, v0                                   // 000000003304: 2608009F
	v_lshlrev_b32_e32 v4, 2, v4                                // 000000003308: 24080882
	v_add_u32_e32 v43, v43, v4                                 // 00000000330C: 6856092B
	v_add_u32_e32 v44, v44, v4                                 // 000000003310: 6858092C
	v_add_u32_e32 v45, v45, v4                                 // 000000003314: 685A092D
	v_add_u32_e32 v46, v46, v4                                 // 000000003318: 685C092E
	v_add_u32_e32 v47, v47, v4                                 // 00000000331C: 685E092F
	v_add_u32_e32 v48, v48, v4                                 // 000000003320: 68600930
	v_and_b32_e32 v31, 0xffffff, v31                           // 000000003324: 263E3EFF 00FFFFFF
	v_lshlrev_b32_e32 v31, 2, v31                              // 00000000332C: 243E3E82
	v_and_b32_e32 v32, 0xffffff, v32                           // 000000003330: 264040FF 00FFFFFF
	v_lshlrev_b32_e32 v32, 2, v32                              // 000000003338: 24404082
	v_and_b32_e32 v33, 0xffffff, v33                           // 00000000333C: 264242FF 00FFFFFF
	v_lshlrev_b32_e32 v33, 2, v33                              // 000000003344: 24424282
	s_lshl_b32 s3, s66, 2                                      // 000000003348: 8E038242
	buffer_load_dword v34, v31, s[28:31], 0 offen              // 00000000334C: E0501000 8007221F
	buffer_load_dword v35, v32, s[28:31], 0 offen              // 000000003354: E0501000 80072320
	buffer_load_dword v36, v33, s[28:31], 0 offen              // 00000000335C: E0501000 80072421
	buffer_load_dword v25, v22, s[32:35], 0 offen              // 000000003364: E0501000 80081916
	buffer_load_dword v26, v23, s[32:35], 0 offen              // 00000000336C: E0501000 80081A17
	s_mul_i32 s60, 4, s65                                      // 000000003374: 923C4184
	s_add_u32 s32, s60, s32                                    // 000000003378: 8020203C
	s_addc_u32 s33, 0, s33                                     // 00000000337C: 82212180
	buffer_load_dword v28, v22, s[32:35], 0 offen              // 000000003380: E0501000 80081C16
	buffer_load_dword v29, v23, s[32:35], 0 offen              // 000000003388: E0501000 80081D17
	buffer_load_dword v43, s[20:23], 0 offen lds               // 000000003390: E0511000 8005002B
	s_add_u32 m0, 0x100, s48                                   // 000000003398: 807C30FF 00000100
	buffer_load_dword v44, s[20:23], 0 offen lds               // 0000000033A0: E0511000 8005002C
	s_add_u32 m0, 0x200, s48                                   // 0000000033A8: 807C30FF 00000200
	buffer_load_dword v45, s[20:23], 0 offen lds               // 0000000033B0: E0511000 8005002D
	s_add_u32 m0, 0x300, s48                                   // 0000000033B8: 807C30FF 00000300
	buffer_load_dword v46, s[20:23], 0 offen lds               // 0000000033C0: E0511000 8005002E
	s_add_u32 m0, 0x400, s48                                   // 0000000033C8: 807C30FF 00000400
	buffer_load_dword v47, s[20:23], 0 offen lds               // 0000000033D0: E0511000 8005002F
	s_add_u32 m0, 0x500, s48                                   // 0000000033D8: 807C30FF 00000500
	buffer_load_dword v48, s[20:23], 0 offen lds               // 0000000033E0: E0511000 80050030
	s_add_u32 m0, 0, s49                                       // 0000000033E8: 807C3180
	s_add_u32 s20, s57, s20                                    // 0000000033EC: 80141439
	s_addc_u32 s21, 0, s21                                     // 0000000033F0: 82151580
	buffer_load_dwordx4 a[48:51], v49, s[24:27], 0 offen       // 0000000033F4: E05C1000 80863031
	buffer_load_dwordx4 a[52:55], v49, s[24:27], 0 offen offset:1024// 0000000033FC: E05C1400 80863431
	buffer_load_dwordx4 a[56:59], v50, s[24:27], 0 offen       // 000000003404: E05C1000 80863832
	buffer_load_dwordx4 a[60:63], v50, s[24:27], 0 offen offset:1024// 00000000340C: E05C1400 80863C32
	buffer_load_dwordx4 a[64:67], v51, s[24:27], 0 offen       // 000000003414: E05C1000 80864033
	buffer_load_dwordx4 a[68:71], v51, s[24:27], 0 offen offset:1024// 00000000341C: E05C1400 80864433
	buffer_load_dwordx4 a[72:75], v52, s[24:27], 0 offen       // 000000003424: E05C1000 80864834
	buffer_load_dwordx4 a[76:79], v52, s[24:27], 0 offen offset:1024// 00000000342C: E05C1400 80864C34
	buffer_load_dwordx4 a[80:83], v53, s[24:27], 0 offen       // 000000003434: E05C1000 80865035
	buffer_load_dwordx4 a[84:87], v53, s[24:27], 0 offen offset:1024// 00000000343C: E05C1400 80865435
	buffer_load_dwordx4 a[88:91], v54, s[24:27], 0 offen       // 000000003444: E05C1000 80865836
	buffer_load_dwordx4 a[92:95], v54, s[24:27], 0 offen offset:1024// 00000000344C: E05C1400 80865C36
	buffer_load_dwordx4 a[96:99], v55, s[24:27], 0 offen       // 000000003454: E05C1000 80866037
	buffer_load_dwordx4 a[100:103], v55, s[24:27], 0 offen offset:1024// 00000000345C: E05C1400 80866437
	buffer_load_dwordx4 a[104:107], v56, s[24:27], 0 offen     // 000000003464: E05C1000 80866838
	buffer_load_dwordx4 a[108:111], v56, s[24:27], 0 offen offset:1024// 00000000346C: E05C1400 80866C38
	s_add_u32 s24, s58, s24                                    // 000000003474: 8018183A
	s_addc_u32 s25, 0, s25                                     // 000000003478: 82191980
	buffer_load_dword v43, s[20:23], 0 offen lds               // 00000000347C: E0511000 8005002B
	s_add_u32 m0, 0x100, s49                                   // 000000003484: 807C31FF 00000100
	buffer_load_dword v44, s[20:23], 0 offen lds               // 00000000348C: E0511000 8005002C
	s_add_u32 m0, 0x200, s49                                   // 000000003494: 807C31FF 00000200
	buffer_load_dword v45, s[20:23], 0 offen lds               // 00000000349C: E0511000 8005002D
	s_add_u32 m0, 0x300, s49                                   // 0000000034A4: 807C31FF 00000300
	buffer_load_dword v46, s[20:23], 0 offen lds               // 0000000034AC: E0511000 8005002E
	s_add_u32 m0, 0x400, s49                                   // 0000000034B4: 807C31FF 00000400
	buffer_load_dword v47, s[20:23], 0 offen lds               // 0000000034BC: E0511000 8005002F
	s_add_u32 m0, 0x500, s49                                   // 0000000034C4: 807C31FF 00000500
	buffer_load_dword v48, s[20:23], 0 offen lds               // 0000000034CC: E0511000 80050030
	s_add_u32 m0, 0, s50                                       // 0000000034D4: 807C3280
	s_add_u32 s20, s57, s20                                    // 0000000034D8: 80141439
	s_addc_u32 s21, 0, s21                                     // 0000000034DC: 82151580
	buffer_load_dwordx4 a[112:115], v49, s[84:87], 0 offen     // 0000000034E0: E05C1000 80957031
	buffer_load_dwordx4 a[116:119], v49, s[84:87], 0 offen offset:1024// 0000000034E8: E05C1400 80957431
	buffer_load_dwordx4 a[120:123], v50, s[84:87], 0 offen     // 0000000034F0: E05C1000 80957832
	buffer_load_dwordx4 a[124:127], v50, s[84:87], 0 offen offset:1024// 0000000034F8: E05C1400 80957C32
	buffer_load_dwordx4 a[128:131], v51, s[84:87], 0 offen     // 000000003500: E05C1000 80958033
	buffer_load_dwordx4 a[132:135], v51, s[84:87], 0 offen offset:1024// 000000003508: E05C1400 80958433
	buffer_load_dwordx4 a[136:139], v52, s[84:87], 0 offen     // 000000003510: E05C1000 80958834
	buffer_load_dwordx4 a[140:143], v52, s[84:87], 0 offen offset:1024// 000000003518: E05C1400 80958C34
	buffer_load_dwordx4 a[144:147], v53, s[84:87], 0 offen     // 000000003520: E05C1000 80959035
	buffer_load_dwordx4 a[148:151], v53, s[84:87], 0 offen offset:1024// 000000003528: E05C1400 80959435
	buffer_load_dwordx4 a[152:155], v54, s[84:87], 0 offen     // 000000003530: E05C1000 80959836
	buffer_load_dwordx4 a[156:159], v54, s[84:87], 0 offen offset:1024// 000000003538: E05C1400 80959C36
	buffer_load_dwordx4 a[160:163], v55, s[84:87], 0 offen     // 000000003540: E05C1000 8095A037
	buffer_load_dwordx4 a[164:167], v55, s[84:87], 0 offen offset:1024// 000000003548: E05C1400 8095A437
	buffer_load_dwordx4 a[168:171], v56, s[84:87], 0 offen     // 000000003550: E05C1000 8095A838
	buffer_load_dwordx4 a[172:175], v56, s[84:87], 0 offen offset:1024// 000000003558: E05C1400 8095AC38
	s_add_u32 s84, s83, s84                                    // 000000003560: 80545453
	s_addc_u32 s85, 0, s85                                     // 000000003564: 82555580
	s_waitcnt vmcnt(38)                                        // 000000003568: BF8C8F76
	s_barrier                                                  // 00000000356C: BF8A0000
	ds_read_b128 a[0:3], v2                                    // 000000003570: DBFE0000 00000002
	ds_read_b128 a[4:7], v2 offset:64                          // 000000003578: DBFE0040 04000002
	ds_read_b128 a[8:11], v2 offset:512                        // 000000003580: DBFE0200 08000002
	ds_read_b128 a[12:15], v2 offset:576                       // 000000003588: DBFE0240 0C000002
	ds_read_b128 a[16:19], v2 offset:1024                      // 000000003590: DBFE0400 10000002
	ds_read_b128 a[20:23], v2 offset:1088                      // 000000003598: DBFE0440 14000002
	s_cmp_lt_i32 s7, 2                                         // 0000000035A0: BF048207
	s_cbranch_scc0 label_225B                                  // 0000000035A4: BF841F6E

00000000000035a8 <label_02EA>:
	s_waitcnt vmcnt(22) lgkmcnt(0)                             // 0000000035A8: BF8C4076
	v_mfma_f32_16x16x32_fp8_fp8 v[60:63], a[48:49], a[0:1], v[60:63]// 0000000035AC: D3F3003C 1CF20130
	v_mfma_f32_16x16x32_fp8_fp8 v[60:63], a[50:51], a[2:3], v[60:63]// 0000000035B4: D3F3003C 1CF20532
	buffer_load_dwordx4 a[176:179], v49, s[24:27], 0 offen     // 0000000035BC: E05C1000 8086B031
	v_mfma_f32_16x16x32_fp8_fp8 v[60:63], a[52:53], a[4:5], v[60:63]// 0000000035C4: D3F3003C 1CF20934
	v_mfma_f32_16x16x32_fp8_fp8 v[60:63], a[54:55], a[6:7], v[60:63]// 0000000035CC: D3F3003C 1CF20D36
	v_mfma_f32_16x16x32_fp8_fp8 v[72:75], a[56:57], a[0:1], v[72:75]// 0000000035D4: D3F30048 1D220138
	v_mfma_f32_16x16x32_fp8_fp8 v[72:75], a[58:59], a[2:3], v[72:75]// 0000000035DC: D3F30048 1D22053A
	buffer_load_dwordx4 a[180:183], v49, s[24:27], 0 offen offset:1024// 0000000035E4: E05C1400 8086B431
	v_mfma_f32_16x16x32_fp8_fp8 v[72:75], a[60:61], a[4:5], v[72:75]// 0000000035EC: D3F30048 1D22093C
	v_mfma_f32_16x16x32_fp8_fp8 v[72:75], a[62:63], a[6:7], v[72:75]// 0000000035F4: D3F30048 1D220D3E
	v_mfma_f32_16x16x32_fp8_fp8 v[84:87], a[64:65], a[0:1], v[84:87]// 0000000035FC: D3F30054 1D520140
	v_mfma_f32_16x16x32_fp8_fp8 v[84:87], a[66:67], a[2:3], v[84:87]// 000000003604: D3F30054 1D520542
	buffer_load_dwordx4 a[184:187], v50, s[24:27], 0 offen     // 00000000360C: E05C1000 8086B832
	v_mfma_f32_16x16x32_fp8_fp8 v[84:87], a[68:69], a[4:5], v[84:87]// 000000003614: D3F30054 1D520944
	v_mfma_f32_16x16x32_fp8_fp8 v[84:87], a[70:71], a[6:7], v[84:87]// 00000000361C: D3F30054 1D520D46
	v_mfma_f32_16x16x32_fp8_fp8 v[96:99], a[72:73], a[0:1], v[96:99]// 000000003624: D3F30060 1D820148
	v_mfma_f32_16x16x32_fp8_fp8 v[96:99], a[74:75], a[2:3], v[96:99]// 00000000362C: D3F30060 1D82054A
	buffer_load_dwordx4 a[188:191], v50, s[24:27], 0 offen offset:1024// 000000003634: E05C1400 8086BC32
	v_mfma_f32_16x16x32_fp8_fp8 v[96:99], a[76:77], a[4:5], v[96:99]// 00000000363C: D3F30060 1D82094C
	v_mfma_f32_16x16x32_fp8_fp8 v[96:99], a[78:79], a[6:7], v[96:99]// 000000003644: D3F30060 1D820D4E
	v_mfma_f32_16x16x32_fp8_fp8 v[108:111], a[80:81], a[0:1], v[108:111]// 00000000364C: D3F3006C 1DB20150
	v_mfma_f32_16x16x32_fp8_fp8 v[108:111], a[82:83], a[2:3], v[108:111]// 000000003654: D3F3006C 1DB20552
	buffer_load_dwordx4 a[192:195], v51, s[24:27], 0 offen     // 00000000365C: E05C1000 8086C033
	v_mfma_f32_16x16x32_fp8_fp8 v[108:111], a[84:85], a[4:5], v[108:111]// 000000003664: D3F3006C 1DB20954
	v_mfma_f32_16x16x32_fp8_fp8 v[108:111], a[86:87], a[6:7], v[108:111]// 00000000366C: D3F3006C 1DB20D56
	v_mfma_f32_16x16x32_fp8_fp8 v[120:123], a[88:89], a[0:1], v[120:123]// 000000003674: D3F30078 1DE20158
	v_mfma_f32_16x16x32_fp8_fp8 v[120:123], a[90:91], a[2:3], v[120:123]// 00000000367C: D3F30078 1DE2055A
	buffer_load_dwordx4 a[196:199], v51, s[24:27], 0 offen offset:1024// 000000003684: E05C1400 8086C433
	v_mfma_f32_16x16x32_fp8_fp8 v[120:123], a[92:93], a[4:5], v[120:123]// 00000000368C: D3F30078 1DE2095C
	v_mfma_f32_16x16x32_fp8_fp8 v[120:123], a[94:95], a[6:7], v[120:123]// 000000003694: D3F30078 1DE20D5E
	v_mfma_f32_16x16x32_fp8_fp8 v[132:135], a[96:97], a[0:1], v[132:135]// 00000000369C: D3F30084 1E120160
	v_mfma_f32_16x16x32_fp8_fp8 v[132:135], a[98:99], a[2:3], v[132:135]// 0000000036A4: D3F30084 1E120562
	buffer_load_dwordx4 a[200:203], v52, s[24:27], 0 offen     // 0000000036AC: E05C1000 8086C834
	v_mfma_f32_16x16x32_fp8_fp8 v[132:135], a[100:101], a[4:5], v[132:135]// 0000000036B4: D3F30084 1E120964
	v_mfma_f32_16x16x32_fp8_fp8 v[132:135], a[102:103], a[6:7], v[132:135]// 0000000036BC: D3F30084 1E120D66
	v_mfma_f32_16x16x32_fp8_fp8 v[144:147], a[104:105], a[0:1], v[144:147]// 0000000036C4: D3F30090 1E420168
	v_mfma_f32_16x16x32_fp8_fp8 v[144:147], a[106:107], a[2:3], v[144:147]// 0000000036CC: D3F30090 1E42056A
	buffer_load_dwordx4 a[204:207], v52, s[24:27], 0 offen offset:1024// 0000000036D4: E05C1400 8086CC34
	v_mfma_f32_16x16x32_fp8_fp8 v[144:147], a[108:109], a[4:5], v[144:147]// 0000000036DC: D3F30090 1E42096C
	v_mfma_f32_16x16x32_fp8_fp8 v[144:147], a[110:111], a[6:7], v[144:147]// 0000000036E4: D3F30090 1E420D6E
	v_mfma_f32_16x16x32_fp8_fp8 v[64:67], a[48:49], a[8:9], v[64:67]// 0000000036EC: D3F30040 1D021130
	v_mfma_f32_16x16x32_fp8_fp8 v[64:67], a[50:51], a[10:11], v[64:67]// 0000000036F4: D3F30040 1D021532
	buffer_load_dwordx4 a[208:211], v53, s[24:27], 0 offen     // 0000000036FC: E05C1000 8086D035
	v_mfma_f32_16x16x32_fp8_fp8 v[64:67], a[52:53], a[12:13], v[64:67]// 000000003704: D3F30040 1D021934
	v_mfma_f32_16x16x32_fp8_fp8 v[64:67], a[54:55], a[14:15], v[64:67]// 00000000370C: D3F30040 1D021D36
	v_mfma_f32_16x16x32_fp8_fp8 v[76:79], a[56:57], a[8:9], v[76:79]// 000000003714: D3F3004C 1D321138
	v_mfma_f32_16x16x32_fp8_fp8 v[76:79], a[58:59], a[10:11], v[76:79]// 00000000371C: D3F3004C 1D32153A
	buffer_load_dwordx4 a[212:215], v53, s[24:27], 0 offen offset:1024// 000000003724: E05C1400 8086D435
	v_mfma_f32_16x16x32_fp8_fp8 v[76:79], a[60:61], a[12:13], v[76:79]// 00000000372C: D3F3004C 1D32193C
	v_mfma_f32_16x16x32_fp8_fp8 v[76:79], a[62:63], a[14:15], v[76:79]// 000000003734: D3F3004C 1D321D3E
	v_mfma_f32_16x16x32_fp8_fp8 v[88:91], a[64:65], a[8:9], v[88:91]// 00000000373C: D3F30058 1D621140
	v_mfma_f32_16x16x32_fp8_fp8 v[88:91], a[66:67], a[10:11], v[88:91]// 000000003744: D3F30058 1D621542
	buffer_load_dwordx4 a[216:219], v54, s[24:27], 0 offen     // 00000000374C: E05C1000 8086D836
	v_mfma_f32_16x16x32_fp8_fp8 v[88:91], a[68:69], a[12:13], v[88:91]// 000000003754: D3F30058 1D621944
	v_mfma_f32_16x16x32_fp8_fp8 v[88:91], a[70:71], a[14:15], v[88:91]// 00000000375C: D3F30058 1D621D46
	v_mfma_f32_16x16x32_fp8_fp8 v[100:103], a[72:73], a[8:9], v[100:103]// 000000003764: D3F30064 1D921148
	v_mfma_f32_16x16x32_fp8_fp8 v[100:103], a[74:75], a[10:11], v[100:103]// 00000000376C: D3F30064 1D92154A
	buffer_load_dwordx4 a[220:223], v54, s[24:27], 0 offen offset:1024// 000000003774: E05C1400 8086DC36
	v_mfma_f32_16x16x32_fp8_fp8 v[100:103], a[76:77], a[12:13], v[100:103]// 00000000377C: D3F30064 1D92194C
	v_mfma_f32_16x16x32_fp8_fp8 v[100:103], a[78:79], a[14:15], v[100:103]// 000000003784: D3F30064 1D921D4E
	v_mfma_f32_16x16x32_fp8_fp8 v[112:115], a[80:81], a[8:9], v[112:115]// 00000000378C: D3F30070 1DC21150
	v_mfma_f32_16x16x32_fp8_fp8 v[112:115], a[82:83], a[10:11], v[112:115]// 000000003794: D3F30070 1DC21552
	buffer_load_dwordx4 a[224:227], v55, s[24:27], 0 offen     // 00000000379C: E05C1000 8086E037
	v_mfma_f32_16x16x32_fp8_fp8 v[112:115], a[84:85], a[12:13], v[112:115]// 0000000037A4: D3F30070 1DC21954
	v_mfma_f32_16x16x32_fp8_fp8 v[112:115], a[86:87], a[14:15], v[112:115]// 0000000037AC: D3F30070 1DC21D56
	v_mfma_f32_16x16x32_fp8_fp8 v[124:127], a[88:89], a[8:9], v[124:127]// 0000000037B4: D3F3007C 1DF21158
	v_mfma_f32_16x16x32_fp8_fp8 v[124:127], a[90:91], a[10:11], v[124:127]// 0000000037BC: D3F3007C 1DF2155A
	buffer_load_dwordx4 a[228:231], v55, s[24:27], 0 offen offset:1024// 0000000037C4: E05C1400 8086E437
	v_mfma_f32_16x16x32_fp8_fp8 v[124:127], a[92:93], a[12:13], v[124:127]// 0000000037CC: D3F3007C 1DF2195C
	v_mfma_f32_16x16x32_fp8_fp8 v[124:127], a[94:95], a[14:15], v[124:127]// 0000000037D4: D3F3007C 1DF21D5E
	v_mfma_f32_16x16x32_fp8_fp8 v[136:139], a[96:97], a[8:9], v[136:139]// 0000000037DC: D3F30088 1E221160
	v_mfma_f32_16x16x32_fp8_fp8 v[136:139], a[98:99], a[10:11], v[136:139]// 0000000037E4: D3F30088 1E221562
	buffer_load_dwordx4 a[232:235], v56, s[24:27], 0 offen     // 0000000037EC: E05C1000 8086E838
	v_mfma_f32_16x16x32_fp8_fp8 v[136:139], a[100:101], a[12:13], v[136:139]// 0000000037F4: D3F30088 1E221964
	v_mfma_f32_16x16x32_fp8_fp8 v[136:139], a[102:103], a[14:15], v[136:139]// 0000000037FC: D3F30088 1E221D66
	v_mfma_f32_16x16x32_fp8_fp8 v[148:151], a[104:105], a[8:9], v[148:151]// 000000003804: D3F30094 1E521168
	v_mfma_f32_16x16x32_fp8_fp8 v[148:151], a[106:107], a[10:11], v[148:151]// 00000000380C: D3F30094 1E52156A
	buffer_load_dwordx4 a[236:239], v56, s[24:27], 0 offen offset:1024// 000000003814: E05C1400 8086EC38
	buffer_load_dword v43, s[20:23], 0 offen lds               // 00000000381C: E0511000 8005002B
	s_add_u32 m0, 0x100, s50                                   // 000000003824: 807C32FF 00000100
	v_mfma_f32_16x16x32_fp8_fp8 v[148:151], a[108:109], a[12:13], v[148:151]// 00000000382C: D3F30094 1E52196C
	v_mfma_f32_16x16x32_fp8_fp8 v[148:151], a[110:111], a[14:15], v[148:151]// 000000003834: D3F30094 1E521D6E
	buffer_load_dword v44, s[20:23], 0 offen lds               // 00000000383C: E0511000 8005002C
	s_add_u32 m0, 0x200, s50                                   // 000000003844: 807C32FF 00000200
	v_mfma_f32_16x16x32_fp8_fp8 v[68:71], a[48:49], a[16:17], v[68:71]// 00000000384C: D3F30044 1D122130
	v_mfma_f32_16x16x32_fp8_fp8 v[68:71], a[50:51], a[18:19], v[68:71]// 000000003854: D3F30044 1D122532
	buffer_load_dword v45, s[20:23], 0 offen lds               // 00000000385C: E0511000 8005002D
	s_add_u32 m0, 0x300, s50                                   // 000000003864: 807C32FF 00000300
	v_mfma_f32_16x16x32_fp8_fp8 v[68:71], a[52:53], a[20:21], v[68:71]// 00000000386C: D3F30044 1D122934
	v_mfma_f32_16x16x32_fp8_fp8 v[68:71], a[54:55], a[22:23], v[68:71]// 000000003874: D3F30044 1D122D36
	buffer_load_dword v46, s[20:23], 0 offen lds               // 00000000387C: E0511000 8005002E
	s_add_u32 m0, 0x400, s50                                   // 000000003884: 807C32FF 00000400
	v_mfma_f32_16x16x32_fp8_fp8 v[80:83], a[56:57], a[16:17], v[80:83]// 00000000388C: D3F30050 1D422138
	v_mfma_f32_16x16x32_fp8_fp8 v[80:83], a[58:59], a[18:19], v[80:83]// 000000003894: D3F30050 1D42253A
	buffer_load_dword v47, s[20:23], 0 offen lds               // 00000000389C: E0511000 8005002F
	s_add_u32 m0, 0x500, s50                                   // 0000000038A4: 807C32FF 00000500
	v_mfma_f32_16x16x32_fp8_fp8 v[80:83], a[60:61], a[20:21], v[80:83]// 0000000038AC: D3F30050 1D42293C
	v_mfma_f32_16x16x32_fp8_fp8 v[80:83], a[62:63], a[22:23], v[80:83]// 0000000038B4: D3F30050 1D422D3E
	buffer_load_dword v48, s[20:23], 0 offen lds               // 0000000038BC: E0511000 80050030
	s_add_u32 m0, 0, s48                                       // 0000000038C4: 807C3080
	v_mfma_f32_16x16x32_fp8_fp8 v[92:95], a[64:65], a[16:17], v[92:95]// 0000000038C8: D3F3005C 1D722140
	v_mfma_f32_16x16x32_fp8_fp8 v[92:95], a[66:67], a[18:19], v[92:95]// 0000000038D0: D3F3005C 1D722542
	v_mfma_f32_16x16x32_fp8_fp8 v[92:95], a[68:69], a[20:21], v[92:95]// 0000000038D8: D3F3005C 1D722944
	v_mfma_f32_16x16x32_fp8_fp8 v[92:95], a[70:71], a[22:23], v[92:95]// 0000000038E0: D3F3005C 1D722D46
	v_mfma_f32_16x16x32_fp8_fp8 v[104:107], a[72:73], a[16:17], v[104:107]// 0000000038E8: D3F30068 1DA22148
	v_mfma_f32_16x16x32_fp8_fp8 v[104:107], a[74:75], a[18:19], v[104:107]// 0000000038F0: D3F30068 1DA2254A
	v_mfma_f32_16x16x32_fp8_fp8 v[104:107], a[76:77], a[20:21], v[104:107]// 0000000038F8: D3F30068 1DA2294C
	v_mfma_f32_16x16x32_fp8_fp8 v[104:107], a[78:79], a[22:23], v[104:107]// 000000003900: D3F30068 1DA22D4E
	v_mfma_f32_16x16x32_fp8_fp8 v[116:119], a[80:81], a[16:17], v[116:119]// 000000003908: D3F30074 1DD22150
	v_mfma_f32_16x16x32_fp8_fp8 v[116:119], a[82:83], a[18:19], v[116:119]// 000000003910: D3F30074 1DD22552
	v_mfma_f32_16x16x32_fp8_fp8 v[116:119], a[84:85], a[20:21], v[116:119]// 000000003918: D3F30074 1DD22954
	v_mfma_f32_16x16x32_fp8_fp8 v[116:119], a[86:87], a[22:23], v[116:119]// 000000003920: D3F30074 1DD22D56
	v_mfma_f32_16x16x32_fp8_fp8 v[128:131], a[88:89], a[16:17], v[128:131]// 000000003928: D3F30080 1E022158
	v_mfma_f32_16x16x32_fp8_fp8 v[128:131], a[90:91], a[18:19], v[128:131]// 000000003930: D3F30080 1E02255A
	v_mfma_f32_16x16x32_fp8_fp8 v[128:131], a[92:93], a[20:21], v[128:131]// 000000003938: D3F30080 1E02295C
	v_mfma_f32_16x16x32_fp8_fp8 v[128:131], a[94:95], a[22:23], v[128:131]// 000000003940: D3F30080 1E022D5E
	v_mfma_f32_16x16x32_fp8_fp8 v[140:143], a[96:97], a[16:17], v[140:143]// 000000003948: D3F3008C 1E322160
	v_mfma_f32_16x16x32_fp8_fp8 v[140:143], a[98:99], a[18:19], v[140:143]// 000000003950: D3F3008C 1E322562
	v_mfma_f32_16x16x32_fp8_fp8 v[140:143], a[100:101], a[20:21], v[140:143]// 000000003958: D3F3008C 1E322964
	v_mfma_f32_16x16x32_fp8_fp8 v[140:143], a[102:103], a[22:23], v[140:143]// 000000003960: D3F3008C 1E322D66
	v_mfma_f32_16x16x32_fp8_fp8 v[152:155], a[104:105], a[16:17], v[152:155]// 000000003968: D3F30098 1E622168
	v_mfma_f32_16x16x32_fp8_fp8 v[152:155], a[106:107], a[18:19], v[152:155]// 000000003970: D3F30098 1E62256A
	v_mfma_f32_16x16x32_fp8_fp8 v[152:155], a[108:109], a[20:21], v[152:155]// 000000003978: D3F30098 1E62296C
	v_mfma_f32_16x16x32_fp8_fp8 v[152:155], a[110:111], a[22:23], v[152:155]// 000000003980: D3F30098 1E622D6E
	s_waitcnt vmcnt(22)                                        // 000000003988: BF8C4F76
	s_barrier                                                  // 00000000398C: BF8A0000
	v_mfma_f32_16x16x32_fp8_fp8 v[156:159], a[112:113], a[0:1], v[156:159]// 000000003990: D3F3009C 1E720170
	v_mfma_f32_16x16x32_fp8_fp8 v[156:159], a[114:115], a[2:3], v[156:159]// 000000003998: D3F3009C 1E720572
	buffer_load_dwordx4 a[48:51], v49, s[84:87], 0 offen       // 0000000039A0: E05C1000 80953031
	v_mfma_f32_16x16x32_fp8_fp8 v[156:159], a[116:117], a[4:5], v[156:159]// 0000000039A8: D3F3009C 1E720974
	v_mfma_f32_16x16x32_fp8_fp8 v[156:159], a[118:119], a[6:7], v[156:159]// 0000000039B0: D3F3009C 1E720D76
	ds_read_b128 a[24:27], v2 offset:6272                      // 0000000039B8: DBFE1880 18000002
	ds_read_b128 a[28:31], v2 offset:6336                      // 0000000039C0: DBFE18C0 1C000002
	v_mfma_f32_16x16x32_fp8_fp8 v[168:171], a[120:121], a[0:1], v[168:171]// 0000000039C8: D3F300A8 1EA20178
	v_mfma_f32_16x16x32_fp8_fp8 v[168:171], a[122:123], a[2:3], v[168:171]// 0000000039D0: D3F300A8 1EA2057A
	buffer_load_dwordx4 a[52:55], v49, s[84:87], 0 offen offset:1024// 0000000039D8: E05C1400 80953431
	v_mfma_f32_16x16x32_fp8_fp8 v[168:171], a[124:125], a[4:5], v[168:171]// 0000000039E0: D3F300A8 1EA2097C
	v_mfma_f32_16x16x32_fp8_fp8 v[168:171], a[126:127], a[6:7], v[168:171]// 0000000039E8: D3F300A8 1EA20D7E
	ds_read_b128 a[32:35], v2 offset:6784                      // 0000000039F0: DBFE1A80 20000002
	ds_read_b128 a[36:39], v2 offset:6848                      // 0000000039F8: DBFE1AC0 24000002
	v_mfma_f32_16x16x32_fp8_fp8 v[180:183], a[128:129], a[0:1], v[180:183]// 000000003A00: D3F300B4 1ED20180
	v_mfma_f32_16x16x32_fp8_fp8 v[180:183], a[130:131], a[2:3], v[180:183]// 000000003A08: D3F300B4 1ED20582
	buffer_load_dwordx4 a[56:59], v50, s[84:87], 0 offen       // 000000003A10: E05C1000 80953832
	v_mfma_f32_16x16x32_fp8_fp8 v[180:183], a[132:133], a[4:5], v[180:183]// 000000003A18: D3F300B4 1ED20984
	v_mfma_f32_16x16x32_fp8_fp8 v[180:183], a[134:135], a[6:7], v[180:183]// 000000003A20: D3F300B4 1ED20D86
	ds_read_b128 a[40:43], v2 offset:7296                      // 000000003A28: DBFE1C80 28000002
	ds_read_b128 a[44:47], v2 offset:7360                      // 000000003A30: DBFE1CC0 2C000002
	v_mfma_f32_16x16x32_fp8_fp8 v[192:195], a[136:137], a[0:1], v[192:195]// 000000003A38: D3F300C0 1F020188
	v_mfma_f32_16x16x32_fp8_fp8 v[192:195], a[138:139], a[2:3], v[192:195]// 000000003A40: D3F300C0 1F02058A
	buffer_load_dwordx4 a[60:63], v50, s[84:87], 0 offen offset:1024// 000000003A48: E05C1400 80953C32
	v_mfma_f32_16x16x32_fp8_fp8 v[192:195], a[140:141], a[4:5], v[192:195]// 000000003A50: D3F300C0 1F02098C
	v_mfma_f32_16x16x32_fp8_fp8 v[192:195], a[142:143], a[6:7], v[192:195]// 000000003A58: D3F300C0 1F020D8E
	v_mfma_f32_16x16x32_fp8_fp8 v[204:207], a[144:145], a[0:1], v[204:207]// 000000003A60: D3F300CC 1F320190
	v_mfma_f32_16x16x32_fp8_fp8 v[204:207], a[146:147], a[2:3], v[204:207]// 000000003A68: D3F300CC 1F320592
	buffer_load_dwordx4 a[64:67], v51, s[84:87], 0 offen       // 000000003A70: E05C1000 80954033
	v_mfma_f32_16x16x32_fp8_fp8 v[204:207], a[148:149], a[4:5], v[204:207]// 000000003A78: D3F300CC 1F320994
	v_mfma_f32_16x16x32_fp8_fp8 v[204:207], a[150:151], a[6:7], v[204:207]// 000000003A80: D3F300CC 1F320D96
	v_mfma_f32_16x16x32_fp8_fp8 v[216:219], a[152:153], a[0:1], v[216:219]// 000000003A88: D3F300D8 1F620198
	v_mfma_f32_16x16x32_fp8_fp8 v[216:219], a[154:155], a[2:3], v[216:219]// 000000003A90: D3F300D8 1F62059A
	buffer_load_dwordx4 a[68:71], v51, s[84:87], 0 offen offset:1024// 000000003A98: E05C1400 80954433
	v_mfma_f32_16x16x32_fp8_fp8 v[216:219], a[156:157], a[4:5], v[216:219]// 000000003AA0: D3F300D8 1F62099C
	v_mfma_f32_16x16x32_fp8_fp8 v[216:219], a[158:159], a[6:7], v[216:219]// 000000003AA8: D3F300D8 1F620D9E
	v_mfma_f32_16x16x32_fp8_fp8 v[228:231], a[160:161], a[0:1], v[228:231]// 000000003AB0: D3F300E4 1F9201A0
	v_mfma_f32_16x16x32_fp8_fp8 v[228:231], a[162:163], a[2:3], v[228:231]// 000000003AB8: D3F300E4 1F9205A2
	buffer_load_dwordx4 a[72:75], v52, s[84:87], 0 offen       // 000000003AC0: E05C1000 80954834
	v_mfma_f32_16x16x32_fp8_fp8 v[228:231], a[164:165], a[4:5], v[228:231]// 000000003AC8: D3F300E4 1F9209A4
	v_mfma_f32_16x16x32_fp8_fp8 v[228:231], a[166:167], a[6:7], v[228:231]// 000000003AD0: D3F300E4 1F920DA6
	v_mfma_f32_16x16x32_fp8_fp8 v[240:243], a[168:169], a[0:1], v[240:243]// 000000003AD8: D3F300F0 1FC201A8
	v_mfma_f32_16x16x32_fp8_fp8 v[240:243], a[170:171], a[2:3], v[240:243]// 000000003AE0: D3F300F0 1FC205AA
	buffer_load_dwordx4 a[76:79], v52, s[84:87], 0 offen offset:1024// 000000003AE8: E05C1400 80954C34
	v_mfma_f32_16x16x32_fp8_fp8 v[240:243], a[172:173], a[4:5], v[240:243]// 000000003AF0: D3F300F0 1FC209AC
	v_mfma_f32_16x16x32_fp8_fp8 v[240:243], a[174:175], a[6:7], v[240:243]// 000000003AF8: D3F300F0 1FC20DAE
	v_mfma_f32_16x16x32_fp8_fp8 v[160:163], a[112:113], a[8:9], v[160:163]// 000000003B00: D3F300A0 1E821170
	v_mfma_f32_16x16x32_fp8_fp8 v[160:163], a[114:115], a[10:11], v[160:163]// 000000003B08: D3F300A0 1E821572
	buffer_load_dwordx4 a[80:83], v53, s[84:87], 0 offen       // 000000003B10: E05C1000 80955035
	v_mfma_f32_16x16x32_fp8_fp8 v[160:163], a[116:117], a[12:13], v[160:163]// 000000003B18: D3F300A0 1E821974
	v_mfma_f32_16x16x32_fp8_fp8 v[160:163], a[118:119], a[14:15], v[160:163]// 000000003B20: D3F300A0 1E821D76
	v_mfma_f32_16x16x32_fp8_fp8 v[172:175], a[120:121], a[8:9], v[172:175]// 000000003B28: D3F300AC 1EB21178
	v_mfma_f32_16x16x32_fp8_fp8 v[172:175], a[122:123], a[10:11], v[172:175]// 000000003B30: D3F300AC 1EB2157A
	buffer_load_dwordx4 a[84:87], v53, s[84:87], 0 offen offset:1024// 000000003B38: E05C1400 80955435
	v_mfma_f32_16x16x32_fp8_fp8 v[172:175], a[124:125], a[12:13], v[172:175]// 000000003B40: D3F300AC 1EB2197C
	v_mfma_f32_16x16x32_fp8_fp8 v[172:175], a[126:127], a[14:15], v[172:175]// 000000003B48: D3F300AC 1EB21D7E
	v_mfma_f32_16x16x32_fp8_fp8 v[184:187], a[128:129], a[8:9], v[184:187]// 000000003B50: D3F300B8 1EE21180
	v_mfma_f32_16x16x32_fp8_fp8 v[184:187], a[130:131], a[10:11], v[184:187]// 000000003B58: D3F300B8 1EE21582
	buffer_load_dwordx4 a[88:91], v54, s[84:87], 0 offen       // 000000003B60: E05C1000 80955836
	v_mfma_f32_16x16x32_fp8_fp8 v[184:187], a[132:133], a[12:13], v[184:187]// 000000003B68: D3F300B8 1EE21984
	v_mfma_f32_16x16x32_fp8_fp8 v[184:187], a[134:135], a[14:15], v[184:187]// 000000003B70: D3F300B8 1EE21D86
	v_mfma_f32_16x16x32_fp8_fp8 v[196:199], a[136:137], a[8:9], v[196:199]// 000000003B78: D3F300C4 1F121188
	v_mfma_f32_16x16x32_fp8_fp8 v[196:199], a[138:139], a[10:11], v[196:199]// 000000003B80: D3F300C4 1F12158A
	buffer_load_dwordx4 a[92:95], v54, s[84:87], 0 offen offset:1024// 000000003B88: E05C1400 80955C36
	v_mfma_f32_16x16x32_fp8_fp8 v[196:199], a[140:141], a[12:13], v[196:199]// 000000003B90: D3F300C4 1F12198C
	v_mfma_f32_16x16x32_fp8_fp8 v[196:199], a[142:143], a[14:15], v[196:199]// 000000003B98: D3F300C4 1F121D8E
	v_mfma_f32_16x16x32_fp8_fp8 v[208:211], a[144:145], a[8:9], v[208:211]// 000000003BA0: D3F300D0 1F421190
	v_mfma_f32_16x16x32_fp8_fp8 v[208:211], a[146:147], a[10:11], v[208:211]// 000000003BA8: D3F300D0 1F421592
	buffer_load_dwordx4 a[96:99], v55, s[84:87], 0 offen       // 000000003BB0: E05C1000 80956037
	v_mfma_f32_16x16x32_fp8_fp8 v[208:211], a[148:149], a[12:13], v[208:211]// 000000003BB8: D3F300D0 1F421994
	v_mfma_f32_16x16x32_fp8_fp8 v[208:211], a[150:151], a[14:15], v[208:211]// 000000003BC0: D3F300D0 1F421D96
	v_mfma_f32_16x16x32_fp8_fp8 v[220:223], a[152:153], a[8:9], v[220:223]// 000000003BC8: D3F300DC 1F721198
	v_mfma_f32_16x16x32_fp8_fp8 v[220:223], a[154:155], a[10:11], v[220:223]// 000000003BD0: D3F300DC 1F72159A
	buffer_load_dwordx4 a[100:103], v55, s[84:87], 0 offen offset:1024// 000000003BD8: E05C1400 80956437
	v_mfma_f32_16x16x32_fp8_fp8 v[220:223], a[156:157], a[12:13], v[220:223]// 000000003BE0: D3F300DC 1F72199C
	v_mfma_f32_16x16x32_fp8_fp8 v[220:223], a[158:159], a[14:15], v[220:223]// 000000003BE8: D3F300DC 1F721D9E
	v_mfma_f32_16x16x32_fp8_fp8 v[232:235], a[160:161], a[8:9], v[232:235]// 000000003BF0: D3F300E8 1FA211A0
	v_mfma_f32_16x16x32_fp8_fp8 v[232:235], a[162:163], a[10:11], v[232:235]// 000000003BF8: D3F300E8 1FA215A2
	buffer_load_dwordx4 a[104:107], v56, s[84:87], 0 offen     // 000000003C00: E05C1000 80956838
	v_mfma_f32_16x16x32_fp8_fp8 v[232:235], a[164:165], a[12:13], v[232:235]// 000000003C08: D3F300E8 1FA219A4
	v_mfma_f32_16x16x32_fp8_fp8 v[232:235], a[166:167], a[14:15], v[232:235]// 000000003C10: D3F300E8 1FA21DA6
	v_mfma_f32_16x16x32_fp8_fp8 v[244:247], a[168:169], a[8:9], v[244:247]// 000000003C18: D3F300F4 1FD211A8
	v_mfma_f32_16x16x32_fp8_fp8 v[244:247], a[170:171], a[10:11], v[244:247]// 000000003C20: D3F300F4 1FD215AA
	buffer_load_dwordx4 a[108:111], v56, s[84:87], 0 offen offset:1024// 000000003C28: E05C1400 80956C38
	v_mfma_f32_16x16x32_fp8_fp8 v[244:247], a[172:173], a[12:13], v[244:247]// 000000003C30: D3F300F4 1FD219AC
	v_mfma_f32_16x16x32_fp8_fp8 v[244:247], a[174:175], a[14:15], v[244:247]// 000000003C38: D3F300F4 1FD21DAE
	v_mfma_f32_16x16x32_fp8_fp8 v[164:167], a[112:113], a[16:17], v[164:167]// 000000003C40: D3F300A4 1E922170
	v_mfma_f32_16x16x32_fp8_fp8 v[164:167], a[114:115], a[18:19], v[164:167]// 000000003C48: D3F300A4 1E922572
	v_mfma_f32_16x16x32_fp8_fp8 v[164:167], a[116:117], a[20:21], v[164:167]// 000000003C50: D3F300A4 1E922974
	v_mfma_f32_16x16x32_fp8_fp8 v[164:167], a[118:119], a[22:23], v[164:167]// 000000003C58: D3F300A4 1E922D76
	v_mfma_f32_16x16x32_fp8_fp8 v[176:179], a[120:121], a[16:17], v[176:179]// 000000003C60: D3F300B0 1EC22178
	v_mfma_f32_16x16x32_fp8_fp8 v[176:179], a[122:123], a[18:19], v[176:179]// 000000003C68: D3F300B0 1EC2257A
	v_mfma_f32_16x16x32_fp8_fp8 v[176:179], a[124:125], a[20:21], v[176:179]// 000000003C70: D3F300B0 1EC2297C
	v_mfma_f32_16x16x32_fp8_fp8 v[176:179], a[126:127], a[22:23], v[176:179]// 000000003C78: D3F300B0 1EC22D7E
	v_mfma_f32_16x16x32_fp8_fp8 v[188:191], a[128:129], a[16:17], v[188:191]// 000000003C80: D3F300BC 1EF22180
	v_mfma_f32_16x16x32_fp8_fp8 v[188:191], a[130:131], a[18:19], v[188:191]// 000000003C88: D3F300BC 1EF22582
	v_mfma_f32_16x16x32_fp8_fp8 v[188:191], a[132:133], a[20:21], v[188:191]// 000000003C90: D3F300BC 1EF22984
	v_mfma_f32_16x16x32_fp8_fp8 v[188:191], a[134:135], a[22:23], v[188:191]// 000000003C98: D3F300BC 1EF22D86
	v_mfma_f32_16x16x32_fp8_fp8 v[200:203], a[136:137], a[16:17], v[200:203]// 000000003CA0: D3F300C8 1F222188
	v_mfma_f32_16x16x32_fp8_fp8 v[200:203], a[138:139], a[18:19], v[200:203]// 000000003CA8: D3F300C8 1F22258A
	v_mfma_f32_16x16x32_fp8_fp8 v[200:203], a[140:141], a[20:21], v[200:203]// 000000003CB0: D3F300C8 1F22298C
	v_mfma_f32_16x16x32_fp8_fp8 v[200:203], a[142:143], a[22:23], v[200:203]// 000000003CB8: D3F300C8 1F222D8E
	v_mfma_f32_16x16x32_fp8_fp8 v[212:215], a[144:145], a[16:17], v[212:215]// 000000003CC0: D3F300D4 1F522190
	v_mfma_f32_16x16x32_fp8_fp8 v[212:215], a[146:147], a[18:19], v[212:215]// 000000003CC8: D3F300D4 1F522592
	v_mfma_f32_16x16x32_fp8_fp8 v[212:215], a[148:149], a[20:21], v[212:215]// 000000003CD0: D3F300D4 1F522994
	v_mfma_f32_16x16x32_fp8_fp8 v[212:215], a[150:151], a[22:23], v[212:215]// 000000003CD8: D3F300D4 1F522D96
	v_mfma_f32_16x16x32_fp8_fp8 v[224:227], a[152:153], a[16:17], v[224:227]// 000000003CE0: D3F300E0 1F822198
	v_mfma_f32_16x16x32_fp8_fp8 v[224:227], a[154:155], a[18:19], v[224:227]// 000000003CE8: D3F300E0 1F82259A
	v_mfma_f32_16x16x32_fp8_fp8 v[224:227], a[156:157], a[20:21], v[224:227]// 000000003CF0: D3F300E0 1F82299C
	v_mfma_f32_16x16x32_fp8_fp8 v[224:227], a[158:159], a[22:23], v[224:227]// 000000003CF8: D3F300E0 1F822D9E
	v_mfma_f32_16x16x32_fp8_fp8 v[236:239], a[160:161], a[16:17], v[236:239]// 000000003D00: D3F300EC 1FB221A0
	s_add_u32 s60, 0x180, s80                                  // 000000003D08: 803C50FF 00000180
	s_cmp_lt_u32 s60, s81                                      // 000000003D10: BF0A513C
	s_cselect_b32 s57, s57, 0                                  // 000000003D14: 85398039
	v_mfma_f32_16x16x32_fp8_fp8 v[236:239], a[162:163], a[18:19], v[236:239]// 000000003D18: D3F300EC 1FB225A2
	s_add_u32 s60, 0x100, s80                                  // 000000003D20: 803C50FF 00000100
	s_cmp_lt_u32 s60, s81                                      // 000000003D28: BF0A513C
	s_cselect_b32 s58, s58, 0                                  // 000000003D2C: 853A803A
	v_mfma_f32_16x16x32_fp8_fp8 v[236:239], a[164:165], a[20:21], v[236:239]// 000000003D30: D3F300EC 1FB229A4
	s_add_u32 s60, 0x100, s80                                  // 000000003D38: 803C50FF 00000100
	s_cmp_lt_u32 s60, s81                                      // 000000003D40: BF0A513C
	s_cselect_b32 s83, s83, 0                                  // 000000003D44: 85538053
	v_mfma_f32_16x16x32_fp8_fp8 v[236:239], a[166:167], a[22:23], v[236:239]// 000000003D48: D3F300EC 1FB22DA6
	s_add_u32 s24, s58, s24                                    // 000000003D50: 8018183A
	s_addc_u32 s25, 0, s25                                     // 000000003D54: 82191980
	v_mfma_f32_16x16x32_fp8_fp8 v[248:251], a[168:169], a[16:17], v[248:251]// 000000003D58: D3F300F8 1FE221A8
	s_add_u32 s20, s57, s20                                    // 000000003D60: 80141439
	s_addc_u32 s21, 0, s21                                     // 000000003D64: 82151580
	v_mfma_f32_16x16x32_fp8_fp8 v[248:251], a[170:171], a[18:19], v[248:251]// 000000003D68: D3F300F8 1FE225AA
	s_add_u32 s84, s83, s84                                    // 000000003D70: 80545453
	s_addc_u32 s85, 0, s85                                     // 000000003D74: 82555580
	v_mfma_f32_16x16x32_fp8_fp8 v[248:251], a[172:173], a[20:21], v[248:251]// 000000003D78: D3F300F8 1FE229AC
	v_mfma_f32_16x16x32_fp8_fp8 v[248:251], a[174:175], a[22:23], v[248:251]// 000000003D80: D3F300F8 1FE22DAE
	s_addk_i32 s80, 0x80                                       // 000000003D88: B7500080
	s_cmp_lt_i32 s80, s81                                      // 000000003D8C: BF045150
	s_cbranch_scc0 label_0ECD                                  // 000000003D90: BF8409E8
	s_waitcnt vmcnt(22) lgkmcnt(0)                             // 000000003D94: BF8C4076
	v_mfma_f32_16x16x32_fp8_fp8 v[60:63], a[176:177], a[24:25], v[60:63]// 000000003D98: D3F3003C 1CF231B0
	v_mfma_f32_16x16x32_fp8_fp8 v[60:63], a[178:179], a[26:27], v[60:63]// 000000003DA0: D3F3003C 1CF235B2
	buffer_load_dwordx4 a[112:115], v49, s[24:27], 0 offen     // 000000003DA8: E05C1000 80867031
	v_mfma_f32_16x16x32_fp8_fp8 v[60:63], a[180:181], a[28:29], v[60:63]// 000000003DB0: D3F3003C 1CF239B4
	v_mfma_f32_16x16x32_fp8_fp8 v[60:63], a[182:183], a[30:31], v[60:63]// 000000003DB8: D3F3003C 1CF23DB6
	v_mfma_f32_16x16x32_fp8_fp8 v[72:75], a[184:185], a[24:25], v[72:75]// 000000003DC0: D3F30048 1D2231B8
	v_mfma_f32_16x16x32_fp8_fp8 v[72:75], a[186:187], a[26:27], v[72:75]// 000000003DC8: D3F30048 1D2235BA
	buffer_load_dwordx4 a[116:119], v49, s[24:27], 0 offen offset:1024// 000000003DD0: E05C1400 80867431
	v_mfma_f32_16x16x32_fp8_fp8 v[72:75], a[188:189], a[28:29], v[72:75]// 000000003DD8: D3F30048 1D2239BC
	v_mfma_f32_16x16x32_fp8_fp8 v[72:75], a[190:191], a[30:31], v[72:75]// 000000003DE0: D3F30048 1D223DBE
	v_mfma_f32_16x16x32_fp8_fp8 v[84:87], a[192:193], a[24:25], v[84:87]// 000000003DE8: D3F30054 1D5231C0
	v_mfma_f32_16x16x32_fp8_fp8 v[84:87], a[194:195], a[26:27], v[84:87]// 000000003DF0: D3F30054 1D5235C2
	buffer_load_dwordx4 a[120:123], v50, s[24:27], 0 offen     // 000000003DF8: E05C1000 80867832
	v_mfma_f32_16x16x32_fp8_fp8 v[84:87], a[196:197], a[28:29], v[84:87]// 000000003E00: D3F30054 1D5239C4
	v_mfma_f32_16x16x32_fp8_fp8 v[84:87], a[198:199], a[30:31], v[84:87]// 000000003E08: D3F30054 1D523DC6
	v_mfma_f32_16x16x32_fp8_fp8 v[96:99], a[200:201], a[24:25], v[96:99]// 000000003E10: D3F30060 1D8231C8
	v_mfma_f32_16x16x32_fp8_fp8 v[96:99], a[202:203], a[26:27], v[96:99]// 000000003E18: D3F30060 1D8235CA
	buffer_load_dwordx4 a[124:127], v50, s[24:27], 0 offen offset:1024// 000000003E20: E05C1400 80867C32
	v_mfma_f32_16x16x32_fp8_fp8 v[96:99], a[204:205], a[28:29], v[96:99]// 000000003E28: D3F30060 1D8239CC
	v_mfma_f32_16x16x32_fp8_fp8 v[96:99], a[206:207], a[30:31], v[96:99]// 000000003E30: D3F30060 1D823DCE
	v_mfma_f32_16x16x32_fp8_fp8 v[108:111], a[208:209], a[24:25], v[108:111]// 000000003E38: D3F3006C 1DB231D0
	v_mfma_f32_16x16x32_fp8_fp8 v[108:111], a[210:211], a[26:27], v[108:111]// 000000003E40: D3F3006C 1DB235D2
	buffer_load_dwordx4 a[128:131], v51, s[24:27], 0 offen     // 000000003E48: E05C1000 80868033
	v_mfma_f32_16x16x32_fp8_fp8 v[108:111], a[212:213], a[28:29], v[108:111]// 000000003E50: D3F3006C 1DB239D4
	v_mfma_f32_16x16x32_fp8_fp8 v[108:111], a[214:215], a[30:31], v[108:111]// 000000003E58: D3F3006C 1DB23DD6
	v_mfma_f32_16x16x32_fp8_fp8 v[120:123], a[216:217], a[24:25], v[120:123]// 000000003E60: D3F30078 1DE231D8
	v_mfma_f32_16x16x32_fp8_fp8 v[120:123], a[218:219], a[26:27], v[120:123]// 000000003E68: D3F30078 1DE235DA
	buffer_load_dwordx4 a[132:135], v51, s[24:27], 0 offen offset:1024// 000000003E70: E05C1400 80868433
	v_mfma_f32_16x16x32_fp8_fp8 v[120:123], a[220:221], a[28:29], v[120:123]// 000000003E78: D3F30078 1DE239DC
	v_mfma_f32_16x16x32_fp8_fp8 v[120:123], a[222:223], a[30:31], v[120:123]// 000000003E80: D3F30078 1DE23DDE
	v_mfma_f32_16x16x32_fp8_fp8 v[132:135], a[224:225], a[24:25], v[132:135]// 000000003E88: D3F30084 1E1231E0
	v_mfma_f32_16x16x32_fp8_fp8 v[132:135], a[226:227], a[26:27], v[132:135]// 000000003E90: D3F30084 1E1235E2
	buffer_load_dwordx4 a[136:139], v52, s[24:27], 0 offen     // 000000003E98: E05C1000 80868834
	v_mfma_f32_16x16x32_fp8_fp8 v[132:135], a[228:229], a[28:29], v[132:135]// 000000003EA0: D3F30084 1E1239E4
	v_mfma_f32_16x16x32_fp8_fp8 v[132:135], a[230:231], a[30:31], v[132:135]// 000000003EA8: D3F30084 1E123DE6
	v_mfma_f32_16x16x32_fp8_fp8 v[144:147], a[232:233], a[24:25], v[144:147]// 000000003EB0: D3F30090 1E4231E8
	v_mfma_f32_16x16x32_fp8_fp8 v[144:147], a[234:235], a[26:27], v[144:147]// 000000003EB8: D3F30090 1E4235EA
	buffer_load_dwordx4 a[140:143], v52, s[24:27], 0 offen offset:1024// 000000003EC0: E05C1400 80868C34
	v_mfma_f32_16x16x32_fp8_fp8 v[144:147], a[236:237], a[28:29], v[144:147]// 000000003EC8: D3F30090 1E4239EC
	v_mfma_f32_16x16x32_fp8_fp8 v[144:147], a[238:239], a[30:31], v[144:147]// 000000003ED0: D3F30090 1E423DEE
	v_mfma_f32_16x16x32_fp8_fp8 v[64:67], a[176:177], a[32:33], v[64:67]// 000000003ED8: D3F30040 1D0241B0
	v_mfma_f32_16x16x32_fp8_fp8 v[64:67], a[178:179], a[34:35], v[64:67]// 000000003EE0: D3F30040 1D0245B2
	buffer_load_dwordx4 a[144:147], v53, s[24:27], 0 offen     // 000000003EE8: E05C1000 80869035
	v_mfma_f32_16x16x32_fp8_fp8 v[64:67], a[180:181], a[36:37], v[64:67]// 000000003EF0: D3F30040 1D0249B4
	v_mfma_f32_16x16x32_fp8_fp8 v[64:67], a[182:183], a[38:39], v[64:67]// 000000003EF8: D3F30040 1D024DB6
	v_mfma_f32_16x16x32_fp8_fp8 v[76:79], a[184:185], a[32:33], v[76:79]// 000000003F00: D3F3004C 1D3241B8
	v_mfma_f32_16x16x32_fp8_fp8 v[76:79], a[186:187], a[34:35], v[76:79]// 000000003F08: D3F3004C 1D3245BA
	buffer_load_dwordx4 a[148:151], v53, s[24:27], 0 offen offset:1024// 000000003F10: E05C1400 80869435
	v_mfma_f32_16x16x32_fp8_fp8 v[76:79], a[188:189], a[36:37], v[76:79]// 000000003F18: D3F3004C 1D3249BC
	v_mfma_f32_16x16x32_fp8_fp8 v[76:79], a[190:191], a[38:39], v[76:79]// 000000003F20: D3F3004C 1D324DBE
	v_mfma_f32_16x16x32_fp8_fp8 v[88:91], a[192:193], a[32:33], v[88:91]// 000000003F28: D3F30058 1D6241C0
	v_mfma_f32_16x16x32_fp8_fp8 v[88:91], a[194:195], a[34:35], v[88:91]// 000000003F30: D3F30058 1D6245C2
	buffer_load_dwordx4 a[152:155], v54, s[24:27], 0 offen     // 000000003F38: E05C1000 80869836
	v_mfma_f32_16x16x32_fp8_fp8 v[88:91], a[196:197], a[36:37], v[88:91]// 000000003F40: D3F30058 1D6249C4
	v_mfma_f32_16x16x32_fp8_fp8 v[88:91], a[198:199], a[38:39], v[88:91]// 000000003F48: D3F30058 1D624DC6
	v_mfma_f32_16x16x32_fp8_fp8 v[100:103], a[200:201], a[32:33], v[100:103]// 000000003F50: D3F30064 1D9241C8
	v_mfma_f32_16x16x32_fp8_fp8 v[100:103], a[202:203], a[34:35], v[100:103]// 000000003F58: D3F30064 1D9245CA
	buffer_load_dwordx4 a[156:159], v54, s[24:27], 0 offen offset:1024// 000000003F60: E05C1400 80869C36
	v_mfma_f32_16x16x32_fp8_fp8 v[100:103], a[204:205], a[36:37], v[100:103]// 000000003F68: D3F30064 1D9249CC
	v_mfma_f32_16x16x32_fp8_fp8 v[100:103], a[206:207], a[38:39], v[100:103]// 000000003F70: D3F30064 1D924DCE
	v_mfma_f32_16x16x32_fp8_fp8 v[112:115], a[208:209], a[32:33], v[112:115]// 000000003F78: D3F30070 1DC241D0
	v_mfma_f32_16x16x32_fp8_fp8 v[112:115], a[210:211], a[34:35], v[112:115]// 000000003F80: D3F30070 1DC245D2
	buffer_load_dwordx4 a[160:163], v55, s[24:27], 0 offen     // 000000003F88: E05C1000 8086A037
	v_mfma_f32_16x16x32_fp8_fp8 v[112:115], a[212:213], a[36:37], v[112:115]// 000000003F90: D3F30070 1DC249D4
	v_mfma_f32_16x16x32_fp8_fp8 v[112:115], a[214:215], a[38:39], v[112:115]// 000000003F98: D3F30070 1DC24DD6
	v_mfma_f32_16x16x32_fp8_fp8 v[124:127], a[216:217], a[32:33], v[124:127]// 000000003FA0: D3F3007C 1DF241D8
	v_mfma_f32_16x16x32_fp8_fp8 v[124:127], a[218:219], a[34:35], v[124:127]// 000000003FA8: D3F3007C 1DF245DA
	buffer_load_dwordx4 a[164:167], v55, s[24:27], 0 offen offset:1024// 000000003FB0: E05C1400 8086A437
	v_mfma_f32_16x16x32_fp8_fp8 v[124:127], a[220:221], a[36:37], v[124:127]// 000000003FB8: D3F3007C 1DF249DC
	v_mfma_f32_16x16x32_fp8_fp8 v[124:127], a[222:223], a[38:39], v[124:127]// 000000003FC0: D3F3007C 1DF24DDE
	v_mfma_f32_16x16x32_fp8_fp8 v[136:139], a[224:225], a[32:33], v[136:139]// 000000003FC8: D3F30088 1E2241E0
	v_mfma_f32_16x16x32_fp8_fp8 v[136:139], a[226:227], a[34:35], v[136:139]// 000000003FD0: D3F30088 1E2245E2
	buffer_load_dwordx4 a[168:171], v56, s[24:27], 0 offen     // 000000003FD8: E05C1000 8086A838
	v_mfma_f32_16x16x32_fp8_fp8 v[136:139], a[228:229], a[36:37], v[136:139]// 000000003FE0: D3F30088 1E2249E4
	v_mfma_f32_16x16x32_fp8_fp8 v[136:139], a[230:231], a[38:39], v[136:139]// 000000003FE8: D3F30088 1E224DE6
	v_mfma_f32_16x16x32_fp8_fp8 v[148:151], a[232:233], a[32:33], v[148:151]// 000000003FF0: D3F30094 1E5241E8
	v_mfma_f32_16x16x32_fp8_fp8 v[148:151], a[234:235], a[34:35], v[148:151]// 000000003FF8: D3F30094 1E5245EA
	buffer_load_dwordx4 a[172:175], v56, s[24:27], 0 offen offset:1024// 000000004000: E05C1400 8086AC38
	buffer_load_dword v43, s[20:23], 0 offen lds               // 000000004008: E0511000 8005002B
	s_add_u32 m0, 0x100, s48                                   // 000000004010: 807C30FF 00000100
	v_mfma_f32_16x16x32_fp8_fp8 v[148:151], a[236:237], a[36:37], v[148:151]// 000000004018: D3F30094 1E5249EC
	v_mfma_f32_16x16x32_fp8_fp8 v[148:151], a[238:239], a[38:39], v[148:151]// 000000004020: D3F30094 1E524DEE
	buffer_load_dword v44, s[20:23], 0 offen lds               // 000000004028: E0511000 8005002C
	s_add_u32 m0, 0x200, s48                                   // 000000004030: 807C30FF 00000200
	v_mfma_f32_16x16x32_fp8_fp8 v[68:71], a[176:177], a[40:41], v[68:71]// 000000004038: D3F30044 1D1251B0
	v_mfma_f32_16x16x32_fp8_fp8 v[68:71], a[178:179], a[42:43], v[68:71]// 000000004040: D3F30044 1D1255B2
	buffer_load_dword v45, s[20:23], 0 offen lds               // 000000004048: E0511000 8005002D
	s_add_u32 m0, 0x300, s48                                   // 000000004050: 807C30FF 00000300
	v_mfma_f32_16x16x32_fp8_fp8 v[68:71], a[180:181], a[44:45], v[68:71]// 000000004058: D3F30044 1D1259B4
	v_mfma_f32_16x16x32_fp8_fp8 v[68:71], a[182:183], a[46:47], v[68:71]// 000000004060: D3F30044 1D125DB6
	buffer_load_dword v46, s[20:23], 0 offen lds               // 000000004068: E0511000 8005002E
	s_add_u32 m0, 0x400, s48                                   // 000000004070: 807C30FF 00000400
	v_mfma_f32_16x16x32_fp8_fp8 v[80:83], a[184:185], a[40:41], v[80:83]// 000000004078: D3F30050 1D4251B8
	v_mfma_f32_16x16x32_fp8_fp8 v[80:83], a[186:187], a[42:43], v[80:83]// 000000004080: D3F30050 1D4255BA
	buffer_load_dword v47, s[20:23], 0 offen lds               // 000000004088: E0511000 8005002F
	s_add_u32 m0, 0x500, s48                                   // 000000004090: 807C30FF 00000500
	v_mfma_f32_16x16x32_fp8_fp8 v[80:83], a[188:189], a[44:45], v[80:83]// 000000004098: D3F30050 1D4259BC
	v_mfma_f32_16x16x32_fp8_fp8 v[80:83], a[190:191], a[46:47], v[80:83]// 0000000040A0: D3F30050 1D425DBE
	buffer_load_dword v48, s[20:23], 0 offen lds               // 0000000040A8: E0511000 80050030
	s_add_u32 m0, 0, s49                                       // 0000000040B0: 807C3180
	v_mfma_f32_16x16x32_fp8_fp8 v[92:95], a[192:193], a[40:41], v[92:95]// 0000000040B4: D3F3005C 1D7251C0
	v_mfma_f32_16x16x32_fp8_fp8 v[92:95], a[194:195], a[42:43], v[92:95]// 0000000040BC: D3F3005C 1D7255C2
	v_mfma_f32_16x16x32_fp8_fp8 v[92:95], a[196:197], a[44:45], v[92:95]// 0000000040C4: D3F3005C 1D7259C4
	v_mfma_f32_16x16x32_fp8_fp8 v[92:95], a[198:199], a[46:47], v[92:95]// 0000000040CC: D3F3005C 1D725DC6
	v_mfma_f32_16x16x32_fp8_fp8 v[104:107], a[200:201], a[40:41], v[104:107]// 0000000040D4: D3F30068 1DA251C8
	v_mfma_f32_16x16x32_fp8_fp8 v[104:107], a[202:203], a[42:43], v[104:107]// 0000000040DC: D3F30068 1DA255CA
	v_mfma_f32_16x16x32_fp8_fp8 v[104:107], a[204:205], a[44:45], v[104:107]// 0000000040E4: D3F30068 1DA259CC
	v_mfma_f32_16x16x32_fp8_fp8 v[104:107], a[206:207], a[46:47], v[104:107]// 0000000040EC: D3F30068 1DA25DCE
	v_mfma_f32_16x16x32_fp8_fp8 v[116:119], a[208:209], a[40:41], v[116:119]// 0000000040F4: D3F30074 1DD251D0
	v_mfma_f32_16x16x32_fp8_fp8 v[116:119], a[210:211], a[42:43], v[116:119]// 0000000040FC: D3F30074 1DD255D2
	v_mfma_f32_16x16x32_fp8_fp8 v[116:119], a[212:213], a[44:45], v[116:119]// 000000004104: D3F30074 1DD259D4
	v_mfma_f32_16x16x32_fp8_fp8 v[116:119], a[214:215], a[46:47], v[116:119]// 00000000410C: D3F30074 1DD25DD6
	v_mfma_f32_16x16x32_fp8_fp8 v[128:131], a[216:217], a[40:41], v[128:131]// 000000004114: D3F30080 1E0251D8
	v_mfma_f32_16x16x32_fp8_fp8 v[128:131], a[218:219], a[42:43], v[128:131]// 00000000411C: D3F30080 1E0255DA
	v_mfma_f32_16x16x32_fp8_fp8 v[128:131], a[220:221], a[44:45], v[128:131]// 000000004124: D3F30080 1E0259DC
	v_mfma_f32_16x16x32_fp8_fp8 v[128:131], a[222:223], a[46:47], v[128:131]// 00000000412C: D3F30080 1E025DDE
	v_mfma_f32_16x16x32_fp8_fp8 v[140:143], a[224:225], a[40:41], v[140:143]// 000000004134: D3F3008C 1E3251E0
	v_mfma_f32_16x16x32_fp8_fp8 v[140:143], a[226:227], a[42:43], v[140:143]// 00000000413C: D3F3008C 1E3255E2
	v_mfma_f32_16x16x32_fp8_fp8 v[140:143], a[228:229], a[44:45], v[140:143]// 000000004144: D3F3008C 1E3259E4
	v_mfma_f32_16x16x32_fp8_fp8 v[140:143], a[230:231], a[46:47], v[140:143]// 00000000414C: D3F3008C 1E325DE6
	v_mfma_f32_16x16x32_fp8_fp8 v[152:155], a[232:233], a[40:41], v[152:155]// 000000004154: D3F30098 1E6251E8
	v_mfma_f32_16x16x32_fp8_fp8 v[152:155], a[234:235], a[42:43], v[152:155]// 00000000415C: D3F30098 1E6255EA
	v_mfma_f32_16x16x32_fp8_fp8 v[152:155], a[236:237], a[44:45], v[152:155]// 000000004164: D3F30098 1E6259EC
	v_mfma_f32_16x16x32_fp8_fp8 v[152:155], a[238:239], a[46:47], v[152:155]// 00000000416C: D3F30098 1E625DEE
	s_waitcnt vmcnt(22)                                        // 000000004174: BF8C4F76
	s_barrier                                                  // 000000004178: BF8A0000
	v_mfma_f32_16x16x32_fp8_fp8 v[156:159], a[48:49], a[24:25], v[156:159]// 00000000417C: D3F3009C 1E723130
	v_mfma_f32_16x16x32_fp8_fp8 v[156:159], a[50:51], a[26:27], v[156:159]// 000000004184: D3F3009C 1E723532
	buffer_load_dwordx4 a[176:179], v49, s[84:87], 0 offen     // 00000000418C: E05C1000 8095B031
	v_mfma_f32_16x16x32_fp8_fp8 v[156:159], a[52:53], a[28:29], v[156:159]// 000000004194: D3F3009C 1E723934
	v_mfma_f32_16x16x32_fp8_fp8 v[156:159], a[54:55], a[30:31], v[156:159]// 00000000419C: D3F3009C 1E723D36
	ds_read_b128 a[0:3], v2 offset:12544                       // 0000000041A4: DBFE3100 00000002
	ds_read_b128 a[4:7], v2 offset:12608                       // 0000000041AC: DBFE3140 04000002
	v_mfma_f32_16x16x32_fp8_fp8 v[168:171], a[56:57], a[24:25], v[168:171]// 0000000041B4: D3F300A8 1EA23138
	v_mfma_f32_16x16x32_fp8_fp8 v[168:171], a[58:59], a[26:27], v[168:171]// 0000000041BC: D3F300A8 1EA2353A
	buffer_load_dwordx4 a[180:183], v49, s[84:87], 0 offen offset:1024// 0000000041C4: E05C1400 8095B431
	v_mfma_f32_16x16x32_fp8_fp8 v[168:171], a[60:61], a[28:29], v[168:171]// 0000000041CC: D3F300A8 1EA2393C
	v_mfma_f32_16x16x32_fp8_fp8 v[168:171], a[62:63], a[30:31], v[168:171]// 0000000041D4: D3F300A8 1EA23D3E
	ds_read_b128 a[8:11], v2 offset:13056                      // 0000000041DC: DBFE3300 08000002
	ds_read_b128 a[12:15], v2 offset:13120                     // 0000000041E4: DBFE3340 0C000002
	v_mfma_f32_16x16x32_fp8_fp8 v[180:183], a[64:65], a[24:25], v[180:183]// 0000000041EC: D3F300B4 1ED23140
	v_mfma_f32_16x16x32_fp8_fp8 v[180:183], a[66:67], a[26:27], v[180:183]// 0000000041F4: D3F300B4 1ED23542
	buffer_load_dwordx4 a[184:187], v50, s[84:87], 0 offen     // 0000000041FC: E05C1000 8095B832
	v_mfma_f32_16x16x32_fp8_fp8 v[180:183], a[68:69], a[28:29], v[180:183]// 000000004204: D3F300B4 1ED23944
	v_mfma_f32_16x16x32_fp8_fp8 v[180:183], a[70:71], a[30:31], v[180:183]// 00000000420C: D3F300B4 1ED23D46
	ds_read_b128 a[16:19], v2 offset:13568                     // 000000004214: DBFE3500 10000002
	ds_read_b128 a[20:23], v2 offset:13632                     // 00000000421C: DBFE3540 14000002
	v_mfma_f32_16x16x32_fp8_fp8 v[192:195], a[72:73], a[24:25], v[192:195]// 000000004224: D3F300C0 1F023148
	v_mfma_f32_16x16x32_fp8_fp8 v[192:195], a[74:75], a[26:27], v[192:195]// 00000000422C: D3F300C0 1F02354A
	buffer_load_dwordx4 a[188:191], v50, s[84:87], 0 offen offset:1024// 000000004234: E05C1400 8095BC32
	v_mfma_f32_16x16x32_fp8_fp8 v[192:195], a[76:77], a[28:29], v[192:195]// 00000000423C: D3F300C0 1F02394C
	v_mfma_f32_16x16x32_fp8_fp8 v[192:195], a[78:79], a[30:31], v[192:195]// 000000004244: D3F300C0 1F023D4E
	v_mfma_f32_16x16x32_fp8_fp8 v[204:207], a[80:81], a[24:25], v[204:207]// 00000000424C: D3F300CC 1F323150
	v_mfma_f32_16x16x32_fp8_fp8 v[204:207], a[82:83], a[26:27], v[204:207]// 000000004254: D3F300CC 1F323552
	buffer_load_dwordx4 a[192:195], v51, s[84:87], 0 offen     // 00000000425C: E05C1000 8095C033
	v_mfma_f32_16x16x32_fp8_fp8 v[204:207], a[84:85], a[28:29], v[204:207]// 000000004264: D3F300CC 1F323954
	v_mfma_f32_16x16x32_fp8_fp8 v[204:207], a[86:87], a[30:31], v[204:207]// 00000000426C: D3F300CC 1F323D56
	v_mfma_f32_16x16x32_fp8_fp8 v[216:219], a[88:89], a[24:25], v[216:219]// 000000004274: D3F300D8 1F623158
	v_mfma_f32_16x16x32_fp8_fp8 v[216:219], a[90:91], a[26:27], v[216:219]// 00000000427C: D3F300D8 1F62355A
	buffer_load_dwordx4 a[196:199], v51, s[84:87], 0 offen offset:1024// 000000004284: E05C1400 8095C433
	v_mfma_f32_16x16x32_fp8_fp8 v[216:219], a[92:93], a[28:29], v[216:219]// 00000000428C: D3F300D8 1F62395C
	v_mfma_f32_16x16x32_fp8_fp8 v[216:219], a[94:95], a[30:31], v[216:219]// 000000004294: D3F300D8 1F623D5E
	v_mfma_f32_16x16x32_fp8_fp8 v[228:231], a[96:97], a[24:25], v[228:231]// 00000000429C: D3F300E4 1F923160
	v_mfma_f32_16x16x32_fp8_fp8 v[228:231], a[98:99], a[26:27], v[228:231]// 0000000042A4: D3F300E4 1F923562
	buffer_load_dwordx4 a[200:203], v52, s[84:87], 0 offen     // 0000000042AC: E05C1000 8095C834
	v_mfma_f32_16x16x32_fp8_fp8 v[228:231], a[100:101], a[28:29], v[228:231]// 0000000042B4: D3F300E4 1F923964
	v_mfma_f32_16x16x32_fp8_fp8 v[228:231], a[102:103], a[30:31], v[228:231]// 0000000042BC: D3F300E4 1F923D66
	v_mfma_f32_16x16x32_fp8_fp8 v[240:243], a[104:105], a[24:25], v[240:243]// 0000000042C4: D3F300F0 1FC23168
	v_mfma_f32_16x16x32_fp8_fp8 v[240:243], a[106:107], a[26:27], v[240:243]// 0000000042CC: D3F300F0 1FC2356A
	buffer_load_dwordx4 a[204:207], v52, s[84:87], 0 offen offset:1024// 0000000042D4: E05C1400 8095CC34
	v_mfma_f32_16x16x32_fp8_fp8 v[240:243], a[108:109], a[28:29], v[240:243]// 0000000042DC: D3F300F0 1FC2396C
	v_mfma_f32_16x16x32_fp8_fp8 v[240:243], a[110:111], a[30:31], v[240:243]// 0000000042E4: D3F300F0 1FC23D6E
	v_mfma_f32_16x16x32_fp8_fp8 v[160:163], a[48:49], a[32:33], v[160:163]// 0000000042EC: D3F300A0 1E824130
	v_mfma_f32_16x16x32_fp8_fp8 v[160:163], a[50:51], a[34:35], v[160:163]// 0000000042F4: D3F300A0 1E824532
	buffer_load_dwordx4 a[208:211], v53, s[84:87], 0 offen     // 0000000042FC: E05C1000 8095D035
	v_mfma_f32_16x16x32_fp8_fp8 v[160:163], a[52:53], a[36:37], v[160:163]// 000000004304: D3F300A0 1E824934
	v_mfma_f32_16x16x32_fp8_fp8 v[160:163], a[54:55], a[38:39], v[160:163]// 00000000430C: D3F300A0 1E824D36
	v_mfma_f32_16x16x32_fp8_fp8 v[172:175], a[56:57], a[32:33], v[172:175]// 000000004314: D3F300AC 1EB24138
	v_mfma_f32_16x16x32_fp8_fp8 v[172:175], a[58:59], a[34:35], v[172:175]// 00000000431C: D3F300AC 1EB2453A
	buffer_load_dwordx4 a[212:215], v53, s[84:87], 0 offen offset:1024// 000000004324: E05C1400 8095D435
	v_mfma_f32_16x16x32_fp8_fp8 v[172:175], a[60:61], a[36:37], v[172:175]// 00000000432C: D3F300AC 1EB2493C
	v_mfma_f32_16x16x32_fp8_fp8 v[172:175], a[62:63], a[38:39], v[172:175]// 000000004334: D3F300AC 1EB24D3E
	v_mfma_f32_16x16x32_fp8_fp8 v[184:187], a[64:65], a[32:33], v[184:187]// 00000000433C: D3F300B8 1EE24140
	v_mfma_f32_16x16x32_fp8_fp8 v[184:187], a[66:67], a[34:35], v[184:187]// 000000004344: D3F300B8 1EE24542
	buffer_load_dwordx4 a[216:219], v54, s[84:87], 0 offen     // 00000000434C: E05C1000 8095D836
	v_mfma_f32_16x16x32_fp8_fp8 v[184:187], a[68:69], a[36:37], v[184:187]// 000000004354: D3F300B8 1EE24944
	v_mfma_f32_16x16x32_fp8_fp8 v[184:187], a[70:71], a[38:39], v[184:187]// 00000000435C: D3F300B8 1EE24D46
	v_mfma_f32_16x16x32_fp8_fp8 v[196:199], a[72:73], a[32:33], v[196:199]// 000000004364: D3F300C4 1F124148
	v_mfma_f32_16x16x32_fp8_fp8 v[196:199], a[74:75], a[34:35], v[196:199]// 00000000436C: D3F300C4 1F12454A
	buffer_load_dwordx4 a[220:223], v54, s[84:87], 0 offen offset:1024// 000000004374: E05C1400 8095DC36
	v_mfma_f32_16x16x32_fp8_fp8 v[196:199], a[76:77], a[36:37], v[196:199]// 00000000437C: D3F300C4 1F12494C
	v_mfma_f32_16x16x32_fp8_fp8 v[196:199], a[78:79], a[38:39], v[196:199]// 000000004384: D3F300C4 1F124D4E
	v_mfma_f32_16x16x32_fp8_fp8 v[208:211], a[80:81], a[32:33], v[208:211]// 00000000438C: D3F300D0 1F424150
	v_mfma_f32_16x16x32_fp8_fp8 v[208:211], a[82:83], a[34:35], v[208:211]// 000000004394: D3F300D0 1F424552
	buffer_load_dwordx4 a[224:227], v55, s[84:87], 0 offen     // 00000000439C: E05C1000 8095E037
	v_mfma_f32_16x16x32_fp8_fp8 v[208:211], a[84:85], a[36:37], v[208:211]// 0000000043A4: D3F300D0 1F424954
	v_mfma_f32_16x16x32_fp8_fp8 v[208:211], a[86:87], a[38:39], v[208:211]// 0000000043AC: D3F300D0 1F424D56
	v_mfma_f32_16x16x32_fp8_fp8 v[220:223], a[88:89], a[32:33], v[220:223]// 0000000043B4: D3F300DC 1F724158
	v_mfma_f32_16x16x32_fp8_fp8 v[220:223], a[90:91], a[34:35], v[220:223]// 0000000043BC: D3F300DC 1F72455A
	buffer_load_dwordx4 a[228:231], v55, s[84:87], 0 offen offset:1024// 0000000043C4: E05C1400 8095E437
	v_mfma_f32_16x16x32_fp8_fp8 v[220:223], a[92:93], a[36:37], v[220:223]// 0000000043CC: D3F300DC 1F72495C
	v_mfma_f32_16x16x32_fp8_fp8 v[220:223], a[94:95], a[38:39], v[220:223]// 0000000043D4: D3F300DC 1F724D5E
	v_mfma_f32_16x16x32_fp8_fp8 v[232:235], a[96:97], a[32:33], v[232:235]// 0000000043DC: D3F300E8 1FA24160
	v_mfma_f32_16x16x32_fp8_fp8 v[232:235], a[98:99], a[34:35], v[232:235]// 0000000043E4: D3F300E8 1FA24562
	buffer_load_dwordx4 a[232:235], v56, s[84:87], 0 offen     // 0000000043EC: E05C1000 8095E838
	v_mfma_f32_16x16x32_fp8_fp8 v[232:235], a[100:101], a[36:37], v[232:235]// 0000000043F4: D3F300E8 1FA24964
	v_mfma_f32_16x16x32_fp8_fp8 v[232:235], a[102:103], a[38:39], v[232:235]// 0000000043FC: D3F300E8 1FA24D66
	v_mfma_f32_16x16x32_fp8_fp8 v[244:247], a[104:105], a[32:33], v[244:247]// 000000004404: D3F300F4 1FD24168
	v_mfma_f32_16x16x32_fp8_fp8 v[244:247], a[106:107], a[34:35], v[244:247]// 00000000440C: D3F300F4 1FD2456A
	buffer_load_dwordx4 a[236:239], v56, s[84:87], 0 offen offset:1024// 000000004414: E05C1400 8095EC38
	v_mfma_f32_16x16x32_fp8_fp8 v[244:247], a[108:109], a[36:37], v[244:247]// 00000000441C: D3F300F4 1FD2496C
	v_mfma_f32_16x16x32_fp8_fp8 v[244:247], a[110:111], a[38:39], v[244:247]// 000000004424: D3F300F4 1FD24D6E
	v_mfma_f32_16x16x32_fp8_fp8 v[164:167], a[48:49], a[40:41], v[164:167]// 00000000442C: D3F300A4 1E925130
	v_mfma_f32_16x16x32_fp8_fp8 v[164:167], a[50:51], a[42:43], v[164:167]// 000000004434: D3F300A4 1E925532
	v_mfma_f32_16x16x32_fp8_fp8 v[164:167], a[52:53], a[44:45], v[164:167]// 00000000443C: D3F300A4 1E925934
	v_mfma_f32_16x16x32_fp8_fp8 v[164:167], a[54:55], a[46:47], v[164:167]// 000000004444: D3F300A4 1E925D36
	v_mfma_f32_16x16x32_fp8_fp8 v[176:179], a[56:57], a[40:41], v[176:179]// 00000000444C: D3F300B0 1EC25138
	v_mfma_f32_16x16x32_fp8_fp8 v[176:179], a[58:59], a[42:43], v[176:179]// 000000004454: D3F300B0 1EC2553A
	v_mfma_f32_16x16x32_fp8_fp8 v[176:179], a[60:61], a[44:45], v[176:179]// 00000000445C: D3F300B0 1EC2593C
	v_mfma_f32_16x16x32_fp8_fp8 v[176:179], a[62:63], a[46:47], v[176:179]// 000000004464: D3F300B0 1EC25D3E
	v_mfma_f32_16x16x32_fp8_fp8 v[188:191], a[64:65], a[40:41], v[188:191]// 00000000446C: D3F300BC 1EF25140
	v_mfma_f32_16x16x32_fp8_fp8 v[188:191], a[66:67], a[42:43], v[188:191]// 000000004474: D3F300BC 1EF25542
	v_mfma_f32_16x16x32_fp8_fp8 v[188:191], a[68:69], a[44:45], v[188:191]// 00000000447C: D3F300BC 1EF25944
	v_mfma_f32_16x16x32_fp8_fp8 v[188:191], a[70:71], a[46:47], v[188:191]// 000000004484: D3F300BC 1EF25D46
	v_mfma_f32_16x16x32_fp8_fp8 v[200:203], a[72:73], a[40:41], v[200:203]// 00000000448C: D3F300C8 1F225148
	v_mfma_f32_16x16x32_fp8_fp8 v[200:203], a[74:75], a[42:43], v[200:203]// 000000004494: D3F300C8 1F22554A
	v_mfma_f32_16x16x32_fp8_fp8 v[200:203], a[76:77], a[44:45], v[200:203]// 00000000449C: D3F300C8 1F22594C
	v_mfma_f32_16x16x32_fp8_fp8 v[200:203], a[78:79], a[46:47], v[200:203]// 0000000044A4: D3F300C8 1F225D4E
	v_mfma_f32_16x16x32_fp8_fp8 v[212:215], a[80:81], a[40:41], v[212:215]// 0000000044AC: D3F300D4 1F525150
	v_mfma_f32_16x16x32_fp8_fp8 v[212:215], a[82:83], a[42:43], v[212:215]// 0000000044B4: D3F300D4 1F525552
	v_mfma_f32_16x16x32_fp8_fp8 v[212:215], a[84:85], a[44:45], v[212:215]// 0000000044BC: D3F300D4 1F525954
	v_mfma_f32_16x16x32_fp8_fp8 v[212:215], a[86:87], a[46:47], v[212:215]// 0000000044C4: D3F300D4 1F525D56
	v_mfma_f32_16x16x32_fp8_fp8 v[224:227], a[88:89], a[40:41], v[224:227]// 0000000044CC: D3F300E0 1F825158
	v_mfma_f32_16x16x32_fp8_fp8 v[224:227], a[90:91], a[42:43], v[224:227]// 0000000044D4: D3F300E0 1F82555A
	v_mfma_f32_16x16x32_fp8_fp8 v[224:227], a[92:93], a[44:45], v[224:227]// 0000000044DC: D3F300E0 1F82595C
	v_mfma_f32_16x16x32_fp8_fp8 v[224:227], a[94:95], a[46:47], v[224:227]// 0000000044E4: D3F300E0 1F825D5E
	v_mfma_f32_16x16x32_fp8_fp8 v[236:239], a[96:97], a[40:41], v[236:239]// 0000000044EC: D3F300EC 1FB25160
	s_add_u32 s60, 0x180, s80                                  // 0000000044F4: 803C50FF 00000180
	s_cmp_lt_u32 s60, s81                                      // 0000000044FC: BF0A513C
	s_cselect_b32 s57, s57, 0                                  // 000000004500: 85398039
	v_mfma_f32_16x16x32_fp8_fp8 v[236:239], a[98:99], a[42:43], v[236:239]// 000000004504: D3F300EC 1FB25562
	s_add_u32 s60, 0x100, s80                                  // 00000000450C: 803C50FF 00000100
	s_cmp_lt_u32 s60, s81                                      // 000000004514: BF0A513C
	s_cselect_b32 s58, s58, 0                                  // 000000004518: 853A803A
	v_mfma_f32_16x16x32_fp8_fp8 v[236:239], a[100:101], a[44:45], v[236:239]// 00000000451C: D3F300EC 1FB25964
	s_add_u32 s60, 0x100, s80                                  // 000000004524: 803C50FF 00000100
	s_cmp_lt_u32 s60, s81                                      // 00000000452C: BF0A513C
	s_cselect_b32 s83, s83, 0                                  // 000000004530: 85538053
	v_mfma_f32_16x16x32_fp8_fp8 v[236:239], a[102:103], a[46:47], v[236:239]// 000000004534: D3F300EC 1FB25D66
	s_add_u32 s24, s58, s24                                    // 00000000453C: 8018183A
	s_addc_u32 s25, 0, s25                                     // 000000004540: 82191980
	v_mfma_f32_16x16x32_fp8_fp8 v[248:251], a[104:105], a[40:41], v[248:251]// 000000004544: D3F300F8 1FE25168
	s_add_u32 s20, s57, s20                                    // 00000000454C: 80141439
	s_addc_u32 s21, 0, s21                                     // 000000004550: 82151580
	v_mfma_f32_16x16x32_fp8_fp8 v[248:251], a[106:107], a[42:43], v[248:251]// 000000004554: D3F300F8 1FE2556A
	s_add_u32 s84, s83, s84                                    // 00000000455C: 80545453
	s_addc_u32 s85, 0, s85                                     // 000000004560: 82555580
	v_mfma_f32_16x16x32_fp8_fp8 v[248:251], a[108:109], a[44:45], v[248:251]// 000000004564: D3F300F8 1FE2596C
	v_mfma_f32_16x16x32_fp8_fp8 v[248:251], a[110:111], a[46:47], v[248:251]// 00000000456C: D3F300F8 1FE25D6E
	s_addk_i32 s80, 0x80                                       // 000000004574: B7500080
	s_cmp_lt_i32 s80, s81                                      // 000000004578: BF045150
	s_cbranch_scc0 label_0ECD                                  // 00000000457C: BF8407ED
	s_waitcnt vmcnt(22) lgkmcnt(0)                             // 000000004580: BF8C4076
	v_mfma_f32_16x16x32_fp8_fp8 v[60:63], a[112:113], a[0:1], v[60:63]// 000000004584: D3F3003C 1CF20170
	v_mfma_f32_16x16x32_fp8_fp8 v[60:63], a[114:115], a[2:3], v[60:63]// 00000000458C: D3F3003C 1CF20572
	buffer_load_dwordx4 a[48:51], v49, s[24:27], 0 offen       // 000000004594: E05C1000 80863031
	v_mfma_f32_16x16x32_fp8_fp8 v[60:63], a[116:117], a[4:5], v[60:63]// 00000000459C: D3F3003C 1CF20974
	v_mfma_f32_16x16x32_fp8_fp8 v[60:63], a[118:119], a[6:7], v[60:63]// 0000000045A4: D3F3003C 1CF20D76
	v_mfma_f32_16x16x32_fp8_fp8 v[72:75], a[120:121], a[0:1], v[72:75]// 0000000045AC: D3F30048 1D220178
	v_mfma_f32_16x16x32_fp8_fp8 v[72:75], a[122:123], a[2:3], v[72:75]// 0000000045B4: D3F30048 1D22057A
	buffer_load_dwordx4 a[52:55], v49, s[24:27], 0 offen offset:1024// 0000000045BC: E05C1400 80863431
	v_mfma_f32_16x16x32_fp8_fp8 v[72:75], a[124:125], a[4:5], v[72:75]// 0000000045C4: D3F30048 1D22097C
	v_mfma_f32_16x16x32_fp8_fp8 v[72:75], a[126:127], a[6:7], v[72:75]// 0000000045CC: D3F30048 1D220D7E
	v_mfma_f32_16x16x32_fp8_fp8 v[84:87], a[128:129], a[0:1], v[84:87]// 0000000045D4: D3F30054 1D520180
	v_mfma_f32_16x16x32_fp8_fp8 v[84:87], a[130:131], a[2:3], v[84:87]// 0000000045DC: D3F30054 1D520582
	buffer_load_dwordx4 a[56:59], v50, s[24:27], 0 offen       // 0000000045E4: E05C1000 80863832
	v_mfma_f32_16x16x32_fp8_fp8 v[84:87], a[132:133], a[4:5], v[84:87]// 0000000045EC: D3F30054 1D520984
	v_mfma_f32_16x16x32_fp8_fp8 v[84:87], a[134:135], a[6:7], v[84:87]// 0000000045F4: D3F30054 1D520D86
	v_mfma_f32_16x16x32_fp8_fp8 v[96:99], a[136:137], a[0:1], v[96:99]// 0000000045FC: D3F30060 1D820188
	v_mfma_f32_16x16x32_fp8_fp8 v[96:99], a[138:139], a[2:3], v[96:99]// 000000004604: D3F30060 1D82058A
	buffer_load_dwordx4 a[60:63], v50, s[24:27], 0 offen offset:1024// 00000000460C: E05C1400 80863C32
	v_mfma_f32_16x16x32_fp8_fp8 v[96:99], a[140:141], a[4:5], v[96:99]// 000000004614: D3F30060 1D82098C
	v_mfma_f32_16x16x32_fp8_fp8 v[96:99], a[142:143], a[6:7], v[96:99]// 00000000461C: D3F30060 1D820D8E
	v_mfma_f32_16x16x32_fp8_fp8 v[108:111], a[144:145], a[0:1], v[108:111]// 000000004624: D3F3006C 1DB20190
	v_mfma_f32_16x16x32_fp8_fp8 v[108:111], a[146:147], a[2:3], v[108:111]// 00000000462C: D3F3006C 1DB20592
	buffer_load_dwordx4 a[64:67], v51, s[24:27], 0 offen       // 000000004634: E05C1000 80864033
	v_mfma_f32_16x16x32_fp8_fp8 v[108:111], a[148:149], a[4:5], v[108:111]// 00000000463C: D3F3006C 1DB20994
	v_mfma_f32_16x16x32_fp8_fp8 v[108:111], a[150:151], a[6:7], v[108:111]// 000000004644: D3F3006C 1DB20D96
	v_mfma_f32_16x16x32_fp8_fp8 v[120:123], a[152:153], a[0:1], v[120:123]// 00000000464C: D3F30078 1DE20198
	v_mfma_f32_16x16x32_fp8_fp8 v[120:123], a[154:155], a[2:3], v[120:123]// 000000004654: D3F30078 1DE2059A
	buffer_load_dwordx4 a[68:71], v51, s[24:27], 0 offen offset:1024// 00000000465C: E05C1400 80864433
	v_mfma_f32_16x16x32_fp8_fp8 v[120:123], a[156:157], a[4:5], v[120:123]// 000000004664: D3F30078 1DE2099C
	v_mfma_f32_16x16x32_fp8_fp8 v[120:123], a[158:159], a[6:7], v[120:123]// 00000000466C: D3F30078 1DE20D9E
	v_mfma_f32_16x16x32_fp8_fp8 v[132:135], a[160:161], a[0:1], v[132:135]// 000000004674: D3F30084 1E1201A0
	v_mfma_f32_16x16x32_fp8_fp8 v[132:135], a[162:163], a[2:3], v[132:135]// 00000000467C: D3F30084 1E1205A2
	buffer_load_dwordx4 a[72:75], v52, s[24:27], 0 offen       // 000000004684: E05C1000 80864834
	v_mfma_f32_16x16x32_fp8_fp8 v[132:135], a[164:165], a[4:5], v[132:135]// 00000000468C: D3F30084 1E1209A4
	v_mfma_f32_16x16x32_fp8_fp8 v[132:135], a[166:167], a[6:7], v[132:135]// 000000004694: D3F30084 1E120DA6
	v_mfma_f32_16x16x32_fp8_fp8 v[144:147], a[168:169], a[0:1], v[144:147]// 00000000469C: D3F30090 1E4201A8
	v_mfma_f32_16x16x32_fp8_fp8 v[144:147], a[170:171], a[2:3], v[144:147]// 0000000046A4: D3F30090 1E4205AA
	buffer_load_dwordx4 a[76:79], v52, s[24:27], 0 offen offset:1024// 0000000046AC: E05C1400 80864C34
	v_mfma_f32_16x16x32_fp8_fp8 v[144:147], a[172:173], a[4:5], v[144:147]// 0000000046B4: D3F30090 1E4209AC
	v_mfma_f32_16x16x32_fp8_fp8 v[144:147], a[174:175], a[6:7], v[144:147]// 0000000046BC: D3F30090 1E420DAE
	v_mfma_f32_16x16x32_fp8_fp8 v[64:67], a[112:113], a[8:9], v[64:67]// 0000000046C4: D3F30040 1D021170
	v_mfma_f32_16x16x32_fp8_fp8 v[64:67], a[114:115], a[10:11], v[64:67]// 0000000046CC: D3F30040 1D021572
	buffer_load_dwordx4 a[80:83], v53, s[24:27], 0 offen       // 0000000046D4: E05C1000 80865035
	v_mfma_f32_16x16x32_fp8_fp8 v[64:67], a[116:117], a[12:13], v[64:67]// 0000000046DC: D3F30040 1D021974
	v_mfma_f32_16x16x32_fp8_fp8 v[64:67], a[118:119], a[14:15], v[64:67]// 0000000046E4: D3F30040 1D021D76
	v_mfma_f32_16x16x32_fp8_fp8 v[76:79], a[120:121], a[8:9], v[76:79]// 0000000046EC: D3F3004C 1D321178
	v_mfma_f32_16x16x32_fp8_fp8 v[76:79], a[122:123], a[10:11], v[76:79]// 0000000046F4: D3F3004C 1D32157A
	buffer_load_dwordx4 a[84:87], v53, s[24:27], 0 offen offset:1024// 0000000046FC: E05C1400 80865435
	v_mfma_f32_16x16x32_fp8_fp8 v[76:79], a[124:125], a[12:13], v[76:79]// 000000004704: D3F3004C 1D32197C
	v_mfma_f32_16x16x32_fp8_fp8 v[76:79], a[126:127], a[14:15], v[76:79]// 00000000470C: D3F3004C 1D321D7E
	v_mfma_f32_16x16x32_fp8_fp8 v[88:91], a[128:129], a[8:9], v[88:91]// 000000004714: D3F30058 1D621180
	v_mfma_f32_16x16x32_fp8_fp8 v[88:91], a[130:131], a[10:11], v[88:91]// 00000000471C: D3F30058 1D621582
	buffer_load_dwordx4 a[88:91], v54, s[24:27], 0 offen       // 000000004724: E05C1000 80865836
	v_mfma_f32_16x16x32_fp8_fp8 v[88:91], a[132:133], a[12:13], v[88:91]// 00000000472C: D3F30058 1D621984
	v_mfma_f32_16x16x32_fp8_fp8 v[88:91], a[134:135], a[14:15], v[88:91]// 000000004734: D3F30058 1D621D86
	v_mfma_f32_16x16x32_fp8_fp8 v[100:103], a[136:137], a[8:9], v[100:103]// 00000000473C: D3F30064 1D921188
	v_mfma_f32_16x16x32_fp8_fp8 v[100:103], a[138:139], a[10:11], v[100:103]// 000000004744: D3F30064 1D92158A
	buffer_load_dwordx4 a[92:95], v54, s[24:27], 0 offen offset:1024// 00000000474C: E05C1400 80865C36
	v_mfma_f32_16x16x32_fp8_fp8 v[100:103], a[140:141], a[12:13], v[100:103]// 000000004754: D3F30064 1D92198C
	v_mfma_f32_16x16x32_fp8_fp8 v[100:103], a[142:143], a[14:15], v[100:103]// 00000000475C: D3F30064 1D921D8E
	v_mfma_f32_16x16x32_fp8_fp8 v[112:115], a[144:145], a[8:9], v[112:115]// 000000004764: D3F30070 1DC21190
	v_mfma_f32_16x16x32_fp8_fp8 v[112:115], a[146:147], a[10:11], v[112:115]// 00000000476C: D3F30070 1DC21592
	buffer_load_dwordx4 a[96:99], v55, s[24:27], 0 offen       // 000000004774: E05C1000 80866037
	v_mfma_f32_16x16x32_fp8_fp8 v[112:115], a[148:149], a[12:13], v[112:115]// 00000000477C: D3F30070 1DC21994
	v_mfma_f32_16x16x32_fp8_fp8 v[112:115], a[150:151], a[14:15], v[112:115]// 000000004784: D3F30070 1DC21D96
	v_mfma_f32_16x16x32_fp8_fp8 v[124:127], a[152:153], a[8:9], v[124:127]// 00000000478C: D3F3007C 1DF21198
	v_mfma_f32_16x16x32_fp8_fp8 v[124:127], a[154:155], a[10:11], v[124:127]// 000000004794: D3F3007C 1DF2159A
	buffer_load_dwordx4 a[100:103], v55, s[24:27], 0 offen offset:1024// 00000000479C: E05C1400 80866437
	v_mfma_f32_16x16x32_fp8_fp8 v[124:127], a[156:157], a[12:13], v[124:127]// 0000000047A4: D3F3007C 1DF2199C
	v_mfma_f32_16x16x32_fp8_fp8 v[124:127], a[158:159], a[14:15], v[124:127]// 0000000047AC: D3F3007C 1DF21D9E
	v_mfma_f32_16x16x32_fp8_fp8 v[136:139], a[160:161], a[8:9], v[136:139]// 0000000047B4: D3F30088 1E2211A0
	v_mfma_f32_16x16x32_fp8_fp8 v[136:139], a[162:163], a[10:11], v[136:139]// 0000000047BC: D3F30088 1E2215A2
	buffer_load_dwordx4 a[104:107], v56, s[24:27], 0 offen     // 0000000047C4: E05C1000 80866838
	v_mfma_f32_16x16x32_fp8_fp8 v[136:139], a[164:165], a[12:13], v[136:139]// 0000000047CC: D3F30088 1E2219A4
	v_mfma_f32_16x16x32_fp8_fp8 v[136:139], a[166:167], a[14:15], v[136:139]// 0000000047D4: D3F30088 1E221DA6
	v_mfma_f32_16x16x32_fp8_fp8 v[148:151], a[168:169], a[8:9], v[148:151]// 0000000047DC: D3F30094 1E5211A8
	v_mfma_f32_16x16x32_fp8_fp8 v[148:151], a[170:171], a[10:11], v[148:151]// 0000000047E4: D3F30094 1E5215AA
	buffer_load_dwordx4 a[108:111], v56, s[24:27], 0 offen offset:1024// 0000000047EC: E05C1400 80866C38
	buffer_load_dword v43, s[20:23], 0 offen lds               // 0000000047F4: E0511000 8005002B
	s_add_u32 m0, 0x100, s49                                   // 0000000047FC: 807C31FF 00000100
	v_mfma_f32_16x16x32_fp8_fp8 v[148:151], a[172:173], a[12:13], v[148:151]// 000000004804: D3F30094 1E5219AC
	v_mfma_f32_16x16x32_fp8_fp8 v[148:151], a[174:175], a[14:15], v[148:151]// 00000000480C: D3F30094 1E521DAE
	buffer_load_dword v44, s[20:23], 0 offen lds               // 000000004814: E0511000 8005002C
	s_add_u32 m0, 0x200, s49                                   // 00000000481C: 807C31FF 00000200
	v_mfma_f32_16x16x32_fp8_fp8 v[68:71], a[112:113], a[16:17], v[68:71]// 000000004824: D3F30044 1D122170
	v_mfma_f32_16x16x32_fp8_fp8 v[68:71], a[114:115], a[18:19], v[68:71]// 00000000482C: D3F30044 1D122572
	buffer_load_dword v45, s[20:23], 0 offen lds               // 000000004834: E0511000 8005002D
	s_add_u32 m0, 0x300, s49                                   // 00000000483C: 807C31FF 00000300
	v_mfma_f32_16x16x32_fp8_fp8 v[68:71], a[116:117], a[20:21], v[68:71]// 000000004844: D3F30044 1D122974
	v_mfma_f32_16x16x32_fp8_fp8 v[68:71], a[118:119], a[22:23], v[68:71]// 00000000484C: D3F30044 1D122D76
	buffer_load_dword v46, s[20:23], 0 offen lds               // 000000004854: E0511000 8005002E
	s_add_u32 m0, 0x400, s49                                   // 00000000485C: 807C31FF 00000400
	v_mfma_f32_16x16x32_fp8_fp8 v[80:83], a[120:121], a[16:17], v[80:83]// 000000004864: D3F30050 1D422178
	v_mfma_f32_16x16x32_fp8_fp8 v[80:83], a[122:123], a[18:19], v[80:83]// 00000000486C: D3F30050 1D42257A
	buffer_load_dword v47, s[20:23], 0 offen lds               // 000000004874: E0511000 8005002F
	s_add_u32 m0, 0x500, s49                                   // 00000000487C: 807C31FF 00000500
	v_mfma_f32_16x16x32_fp8_fp8 v[80:83], a[124:125], a[20:21], v[80:83]// 000000004884: D3F30050 1D42297C
	v_mfma_f32_16x16x32_fp8_fp8 v[80:83], a[126:127], a[22:23], v[80:83]// 00000000488C: D3F30050 1D422D7E
	buffer_load_dword v48, s[20:23], 0 offen lds               // 000000004894: E0511000 80050030
	s_add_u32 m0, 0, s50                                       // 00000000489C: 807C3280
	v_mfma_f32_16x16x32_fp8_fp8 v[92:95], a[128:129], a[16:17], v[92:95]// 0000000048A0: D3F3005C 1D722180
	v_mfma_f32_16x16x32_fp8_fp8 v[92:95], a[130:131], a[18:19], v[92:95]// 0000000048A8: D3F3005C 1D722582
	v_mfma_f32_16x16x32_fp8_fp8 v[92:95], a[132:133], a[20:21], v[92:95]// 0000000048B0: D3F3005C 1D722984
	v_mfma_f32_16x16x32_fp8_fp8 v[92:95], a[134:135], a[22:23], v[92:95]// 0000000048B8: D3F3005C 1D722D86
	v_mfma_f32_16x16x32_fp8_fp8 v[104:107], a[136:137], a[16:17], v[104:107]// 0000000048C0: D3F30068 1DA22188
	v_mfma_f32_16x16x32_fp8_fp8 v[104:107], a[138:139], a[18:19], v[104:107]// 0000000048C8: D3F30068 1DA2258A
	v_mfma_f32_16x16x32_fp8_fp8 v[104:107], a[140:141], a[20:21], v[104:107]// 0000000048D0: D3F30068 1DA2298C
	v_mfma_f32_16x16x32_fp8_fp8 v[104:107], a[142:143], a[22:23], v[104:107]// 0000000048D8: D3F30068 1DA22D8E
	v_mfma_f32_16x16x32_fp8_fp8 v[116:119], a[144:145], a[16:17], v[116:119]// 0000000048E0: D3F30074 1DD22190
	v_mfma_f32_16x16x32_fp8_fp8 v[116:119], a[146:147], a[18:19], v[116:119]// 0000000048E8: D3F30074 1DD22592
	v_mfma_f32_16x16x32_fp8_fp8 v[116:119], a[148:149], a[20:21], v[116:119]// 0000000048F0: D3F30074 1DD22994
	v_mfma_f32_16x16x32_fp8_fp8 v[116:119], a[150:151], a[22:23], v[116:119]// 0000000048F8: D3F30074 1DD22D96
	v_mfma_f32_16x16x32_fp8_fp8 v[128:131], a[152:153], a[16:17], v[128:131]// 000000004900: D3F30080 1E022198
	v_mfma_f32_16x16x32_fp8_fp8 v[128:131], a[154:155], a[18:19], v[128:131]// 000000004908: D3F30080 1E02259A
	v_mfma_f32_16x16x32_fp8_fp8 v[128:131], a[156:157], a[20:21], v[128:131]// 000000004910: D3F30080 1E02299C
	v_mfma_f32_16x16x32_fp8_fp8 v[128:131], a[158:159], a[22:23], v[128:131]// 000000004918: D3F30080 1E022D9E
	v_mfma_f32_16x16x32_fp8_fp8 v[140:143], a[160:161], a[16:17], v[140:143]// 000000004920: D3F3008C 1E3221A0
	v_mfma_f32_16x16x32_fp8_fp8 v[140:143], a[162:163], a[18:19], v[140:143]// 000000004928: D3F3008C 1E3225A2
	v_mfma_f32_16x16x32_fp8_fp8 v[140:143], a[164:165], a[20:21], v[140:143]// 000000004930: D3F3008C 1E3229A4
	v_mfma_f32_16x16x32_fp8_fp8 v[140:143], a[166:167], a[22:23], v[140:143]// 000000004938: D3F3008C 1E322DA6
	v_mfma_f32_16x16x32_fp8_fp8 v[152:155], a[168:169], a[16:17], v[152:155]// 000000004940: D3F30098 1E6221A8
	v_mfma_f32_16x16x32_fp8_fp8 v[152:155], a[170:171], a[18:19], v[152:155]// 000000004948: D3F30098 1E6225AA
	v_mfma_f32_16x16x32_fp8_fp8 v[152:155], a[172:173], a[20:21], v[152:155]// 000000004950: D3F30098 1E6229AC
	v_mfma_f32_16x16x32_fp8_fp8 v[152:155], a[174:175], a[22:23], v[152:155]// 000000004958: D3F30098 1E622DAE
	s_waitcnt vmcnt(22)                                        // 000000004960: BF8C4F76
	s_barrier                                                  // 000000004964: BF8A0000
	v_mfma_f32_16x16x32_fp8_fp8 v[156:159], a[176:177], a[0:1], v[156:159]// 000000004968: D3F3009C 1E7201B0
	v_mfma_f32_16x16x32_fp8_fp8 v[156:159], a[178:179], a[2:3], v[156:159]// 000000004970: D3F3009C 1E7205B2
	buffer_load_dwordx4 a[112:115], v49, s[84:87], 0 offen     // 000000004978: E05C1000 80957031
	v_mfma_f32_16x16x32_fp8_fp8 v[156:159], a[180:181], a[4:5], v[156:159]// 000000004980: D3F3009C 1E7209B4
	v_mfma_f32_16x16x32_fp8_fp8 v[156:159], a[182:183], a[6:7], v[156:159]// 000000004988: D3F3009C 1E720DB6
	ds_read_b128 a[24:27], v2                                  // 000000004990: DBFE0000 18000002
	ds_read_b128 a[28:31], v2 offset:64                        // 000000004998: DBFE0040 1C000002
	v_mfma_f32_16x16x32_fp8_fp8 v[168:171], a[184:185], a[0:1], v[168:171]// 0000000049A0: D3F300A8 1EA201B8
	v_mfma_f32_16x16x32_fp8_fp8 v[168:171], a[186:187], a[2:3], v[168:171]// 0000000049A8: D3F300A8 1EA205BA
	buffer_load_dwordx4 a[116:119], v49, s[84:87], 0 offen offset:1024// 0000000049B0: E05C1400 80957431
	v_mfma_f32_16x16x32_fp8_fp8 v[168:171], a[188:189], a[4:5], v[168:171]// 0000000049B8: D3F300A8 1EA209BC
	v_mfma_f32_16x16x32_fp8_fp8 v[168:171], a[190:191], a[6:7], v[168:171]// 0000000049C0: D3F300A8 1EA20DBE
	ds_read_b128 a[32:35], v2 offset:512                       // 0000000049C8: DBFE0200 20000002
	ds_read_b128 a[36:39], v2 offset:576                       // 0000000049D0: DBFE0240 24000002
	v_mfma_f32_16x16x32_fp8_fp8 v[180:183], a[192:193], a[0:1], v[180:183]// 0000000049D8: D3F300B4 1ED201C0
	v_mfma_f32_16x16x32_fp8_fp8 v[180:183], a[194:195], a[2:3], v[180:183]// 0000000049E0: D3F300B4 1ED205C2
	buffer_load_dwordx4 a[120:123], v50, s[84:87], 0 offen     // 0000000049E8: E05C1000 80957832
	v_mfma_f32_16x16x32_fp8_fp8 v[180:183], a[196:197], a[4:5], v[180:183]// 0000000049F0: D3F300B4 1ED209C4
	v_mfma_f32_16x16x32_fp8_fp8 v[180:183], a[198:199], a[6:7], v[180:183]// 0000000049F8: D3F300B4 1ED20DC6
	ds_read_b128 a[40:43], v2 offset:1024                      // 000000004A00: DBFE0400 28000002
	ds_read_b128 a[44:47], v2 offset:1088                      // 000000004A08: DBFE0440 2C000002
	v_mfma_f32_16x16x32_fp8_fp8 v[192:195], a[200:201], a[0:1], v[192:195]// 000000004A10: D3F300C0 1F0201C8
	v_mfma_f32_16x16x32_fp8_fp8 v[192:195], a[202:203], a[2:3], v[192:195]// 000000004A18: D3F300C0 1F0205CA
	buffer_load_dwordx4 a[124:127], v50, s[84:87], 0 offen offset:1024// 000000004A20: E05C1400 80957C32
	v_mfma_f32_16x16x32_fp8_fp8 v[192:195], a[204:205], a[4:5], v[192:195]// 000000004A28: D3F300C0 1F0209CC
	v_mfma_f32_16x16x32_fp8_fp8 v[192:195], a[206:207], a[6:7], v[192:195]// 000000004A30: D3F300C0 1F020DCE
	v_mfma_f32_16x16x32_fp8_fp8 v[204:207], a[208:209], a[0:1], v[204:207]// 000000004A38: D3F300CC 1F3201D0
	v_mfma_f32_16x16x32_fp8_fp8 v[204:207], a[210:211], a[2:3], v[204:207]// 000000004A40: D3F300CC 1F3205D2
	buffer_load_dwordx4 a[128:131], v51, s[84:87], 0 offen     // 000000004A48: E05C1000 80958033
	v_mfma_f32_16x16x32_fp8_fp8 v[204:207], a[212:213], a[4:5], v[204:207]// 000000004A50: D3F300CC 1F3209D4
	v_mfma_f32_16x16x32_fp8_fp8 v[204:207], a[214:215], a[6:7], v[204:207]// 000000004A58: D3F300CC 1F320DD6
	v_mfma_f32_16x16x32_fp8_fp8 v[216:219], a[216:217], a[0:1], v[216:219]// 000000004A60: D3F300D8 1F6201D8
	v_mfma_f32_16x16x32_fp8_fp8 v[216:219], a[218:219], a[2:3], v[216:219]// 000000004A68: D3F300D8 1F6205DA
	buffer_load_dwordx4 a[132:135], v51, s[84:87], 0 offen offset:1024// 000000004A70: E05C1400 80958433
	v_mfma_f32_16x16x32_fp8_fp8 v[216:219], a[220:221], a[4:5], v[216:219]// 000000004A78: D3F300D8 1F6209DC
	v_mfma_f32_16x16x32_fp8_fp8 v[216:219], a[222:223], a[6:7], v[216:219]// 000000004A80: D3F300D8 1F620DDE
	v_mfma_f32_16x16x32_fp8_fp8 v[228:231], a[224:225], a[0:1], v[228:231]// 000000004A88: D3F300E4 1F9201E0
	v_mfma_f32_16x16x32_fp8_fp8 v[228:231], a[226:227], a[2:3], v[228:231]// 000000004A90: D3F300E4 1F9205E2
	buffer_load_dwordx4 a[136:139], v52, s[84:87], 0 offen     // 000000004A98: E05C1000 80958834
	v_mfma_f32_16x16x32_fp8_fp8 v[228:231], a[228:229], a[4:5], v[228:231]// 000000004AA0: D3F300E4 1F9209E4
	v_mfma_f32_16x16x32_fp8_fp8 v[228:231], a[230:231], a[6:7], v[228:231]// 000000004AA8: D3F300E4 1F920DE6
	v_mfma_f32_16x16x32_fp8_fp8 v[240:243], a[232:233], a[0:1], v[240:243]// 000000004AB0: D3F300F0 1FC201E8
	v_mfma_f32_16x16x32_fp8_fp8 v[240:243], a[234:235], a[2:3], v[240:243]// 000000004AB8: D3F300F0 1FC205EA
	buffer_load_dwordx4 a[140:143], v52, s[84:87], 0 offen offset:1024// 000000004AC0: E05C1400 80958C34
	v_mfma_f32_16x16x32_fp8_fp8 v[240:243], a[236:237], a[4:5], v[240:243]// 000000004AC8: D3F300F0 1FC209EC
	v_mfma_f32_16x16x32_fp8_fp8 v[240:243], a[238:239], a[6:7], v[240:243]// 000000004AD0: D3F300F0 1FC20DEE
	v_mfma_f32_16x16x32_fp8_fp8 v[160:163], a[176:177], a[8:9], v[160:163]// 000000004AD8: D3F300A0 1E8211B0
	v_mfma_f32_16x16x32_fp8_fp8 v[160:163], a[178:179], a[10:11], v[160:163]// 000000004AE0: D3F300A0 1E8215B2
	buffer_load_dwordx4 a[144:147], v53, s[84:87], 0 offen     // 000000004AE8: E05C1000 80959035
	v_mfma_f32_16x16x32_fp8_fp8 v[160:163], a[180:181], a[12:13], v[160:163]// 000000004AF0: D3F300A0 1E8219B4
	v_mfma_f32_16x16x32_fp8_fp8 v[160:163], a[182:183], a[14:15], v[160:163]// 000000004AF8: D3F300A0 1E821DB6
	v_mfma_f32_16x16x32_fp8_fp8 v[172:175], a[184:185], a[8:9], v[172:175]// 000000004B00: D3F300AC 1EB211B8
	v_mfma_f32_16x16x32_fp8_fp8 v[172:175], a[186:187], a[10:11], v[172:175]// 000000004B08: D3F300AC 1EB215BA
	buffer_load_dwordx4 a[148:151], v53, s[84:87], 0 offen offset:1024// 000000004B10: E05C1400 80959435
	v_mfma_f32_16x16x32_fp8_fp8 v[172:175], a[188:189], a[12:13], v[172:175]// 000000004B18: D3F300AC 1EB219BC
	v_mfma_f32_16x16x32_fp8_fp8 v[172:175], a[190:191], a[14:15], v[172:175]// 000000004B20: D3F300AC 1EB21DBE
	v_mfma_f32_16x16x32_fp8_fp8 v[184:187], a[192:193], a[8:9], v[184:187]// 000000004B28: D3F300B8 1EE211C0
	v_mfma_f32_16x16x32_fp8_fp8 v[184:187], a[194:195], a[10:11], v[184:187]// 000000004B30: D3F300B8 1EE215C2
	buffer_load_dwordx4 a[152:155], v54, s[84:87], 0 offen     // 000000004B38: E05C1000 80959836
	v_mfma_f32_16x16x32_fp8_fp8 v[184:187], a[196:197], a[12:13], v[184:187]// 000000004B40: D3F300B8 1EE219C4
	v_mfma_f32_16x16x32_fp8_fp8 v[184:187], a[198:199], a[14:15], v[184:187]// 000000004B48: D3F300B8 1EE21DC6
	v_mfma_f32_16x16x32_fp8_fp8 v[196:199], a[200:201], a[8:9], v[196:199]// 000000004B50: D3F300C4 1F1211C8
	v_mfma_f32_16x16x32_fp8_fp8 v[196:199], a[202:203], a[10:11], v[196:199]// 000000004B58: D3F300C4 1F1215CA
	buffer_load_dwordx4 a[156:159], v54, s[84:87], 0 offen offset:1024// 000000004B60: E05C1400 80959C36
	v_mfma_f32_16x16x32_fp8_fp8 v[196:199], a[204:205], a[12:13], v[196:199]// 000000004B68: D3F300C4 1F1219CC
	v_mfma_f32_16x16x32_fp8_fp8 v[196:199], a[206:207], a[14:15], v[196:199]// 000000004B70: D3F300C4 1F121DCE
	v_mfma_f32_16x16x32_fp8_fp8 v[208:211], a[208:209], a[8:9], v[208:211]// 000000004B78: D3F300D0 1F4211D0
	v_mfma_f32_16x16x32_fp8_fp8 v[208:211], a[210:211], a[10:11], v[208:211]// 000000004B80: D3F300D0 1F4215D2
	buffer_load_dwordx4 a[160:163], v55, s[84:87], 0 offen     // 000000004B88: E05C1000 8095A037
	v_mfma_f32_16x16x32_fp8_fp8 v[208:211], a[212:213], a[12:13], v[208:211]// 000000004B90: D3F300D0 1F4219D4
	v_mfma_f32_16x16x32_fp8_fp8 v[208:211], a[214:215], a[14:15], v[208:211]// 000000004B98: D3F300D0 1F421DD6
	v_mfma_f32_16x16x32_fp8_fp8 v[220:223], a[216:217], a[8:9], v[220:223]// 000000004BA0: D3F300DC 1F7211D8
	v_mfma_f32_16x16x32_fp8_fp8 v[220:223], a[218:219], a[10:11], v[220:223]// 000000004BA8: D3F300DC 1F7215DA
	buffer_load_dwordx4 a[164:167], v55, s[84:87], 0 offen offset:1024// 000000004BB0: E05C1400 8095A437
	v_mfma_f32_16x16x32_fp8_fp8 v[220:223], a[220:221], a[12:13], v[220:223]// 000000004BB8: D3F300DC 1F7219DC
	v_mfma_f32_16x16x32_fp8_fp8 v[220:223], a[222:223], a[14:15], v[220:223]// 000000004BC0: D3F300DC 1F721DDE
	v_mfma_f32_16x16x32_fp8_fp8 v[232:235], a[224:225], a[8:9], v[232:235]// 000000004BC8: D3F300E8 1FA211E0
	v_mfma_f32_16x16x32_fp8_fp8 v[232:235], a[226:227], a[10:11], v[232:235]// 000000004BD0: D3F300E8 1FA215E2
	buffer_load_dwordx4 a[168:171], v56, s[84:87], 0 offen     // 000000004BD8: E05C1000 8095A838
	v_mfma_f32_16x16x32_fp8_fp8 v[232:235], a[228:229], a[12:13], v[232:235]// 000000004BE0: D3F300E8 1FA219E4
	v_mfma_f32_16x16x32_fp8_fp8 v[232:235], a[230:231], a[14:15], v[232:235]// 000000004BE8: D3F300E8 1FA21DE6
	v_mfma_f32_16x16x32_fp8_fp8 v[244:247], a[232:233], a[8:9], v[244:247]// 000000004BF0: D3F300F4 1FD211E8
	v_mfma_f32_16x16x32_fp8_fp8 v[244:247], a[234:235], a[10:11], v[244:247]// 000000004BF8: D3F300F4 1FD215EA
	buffer_load_dwordx4 a[172:175], v56, s[84:87], 0 offen offset:1024// 000000004C00: E05C1400 8095AC38
	v_mfma_f32_16x16x32_fp8_fp8 v[244:247], a[236:237], a[12:13], v[244:247]// 000000004C08: D3F300F4 1FD219EC
	v_mfma_f32_16x16x32_fp8_fp8 v[244:247], a[238:239], a[14:15], v[244:247]// 000000004C10: D3F300F4 1FD21DEE
	v_mfma_f32_16x16x32_fp8_fp8 v[164:167], a[176:177], a[16:17], v[164:167]// 000000004C18: D3F300A4 1E9221B0
	v_mfma_f32_16x16x32_fp8_fp8 v[164:167], a[178:179], a[18:19], v[164:167]// 000000004C20: D3F300A4 1E9225B2
	v_mfma_f32_16x16x32_fp8_fp8 v[164:167], a[180:181], a[20:21], v[164:167]// 000000004C28: D3F300A4 1E9229B4
	v_mfma_f32_16x16x32_fp8_fp8 v[164:167], a[182:183], a[22:23], v[164:167]// 000000004C30: D3F300A4 1E922DB6
	v_mfma_f32_16x16x32_fp8_fp8 v[176:179], a[184:185], a[16:17], v[176:179]// 000000004C38: D3F300B0 1EC221B8
	v_mfma_f32_16x16x32_fp8_fp8 v[176:179], a[186:187], a[18:19], v[176:179]// 000000004C40: D3F300B0 1EC225BA
	v_mfma_f32_16x16x32_fp8_fp8 v[176:179], a[188:189], a[20:21], v[176:179]// 000000004C48: D3F300B0 1EC229BC
	v_mfma_f32_16x16x32_fp8_fp8 v[176:179], a[190:191], a[22:23], v[176:179]// 000000004C50: D3F300B0 1EC22DBE
	v_mfma_f32_16x16x32_fp8_fp8 v[188:191], a[192:193], a[16:17], v[188:191]// 000000004C58: D3F300BC 1EF221C0
	v_mfma_f32_16x16x32_fp8_fp8 v[188:191], a[194:195], a[18:19], v[188:191]// 000000004C60: D3F300BC 1EF225C2
	v_mfma_f32_16x16x32_fp8_fp8 v[188:191], a[196:197], a[20:21], v[188:191]// 000000004C68: D3F300BC 1EF229C4
	v_mfma_f32_16x16x32_fp8_fp8 v[188:191], a[198:199], a[22:23], v[188:191]// 000000004C70: D3F300BC 1EF22DC6
	v_mfma_f32_16x16x32_fp8_fp8 v[200:203], a[200:201], a[16:17], v[200:203]// 000000004C78: D3F300C8 1F2221C8
	v_mfma_f32_16x16x32_fp8_fp8 v[200:203], a[202:203], a[18:19], v[200:203]// 000000004C80: D3F300C8 1F2225CA
	v_mfma_f32_16x16x32_fp8_fp8 v[200:203], a[204:205], a[20:21], v[200:203]// 000000004C88: D3F300C8 1F2229CC
	v_mfma_f32_16x16x32_fp8_fp8 v[200:203], a[206:207], a[22:23], v[200:203]// 000000004C90: D3F300C8 1F222DCE
	v_mfma_f32_16x16x32_fp8_fp8 v[212:215], a[208:209], a[16:17], v[212:215]// 000000004C98: D3F300D4 1F5221D0
	v_mfma_f32_16x16x32_fp8_fp8 v[212:215], a[210:211], a[18:19], v[212:215]// 000000004CA0: D3F300D4 1F5225D2
	v_mfma_f32_16x16x32_fp8_fp8 v[212:215], a[212:213], a[20:21], v[212:215]// 000000004CA8: D3F300D4 1F5229D4
	v_mfma_f32_16x16x32_fp8_fp8 v[212:215], a[214:215], a[22:23], v[212:215]// 000000004CB0: D3F300D4 1F522DD6
	v_mfma_f32_16x16x32_fp8_fp8 v[224:227], a[216:217], a[16:17], v[224:227]// 000000004CB8: D3F300E0 1F8221D8
	v_mfma_f32_16x16x32_fp8_fp8 v[224:227], a[218:219], a[18:19], v[224:227]// 000000004CC0: D3F300E0 1F8225DA
	v_mfma_f32_16x16x32_fp8_fp8 v[224:227], a[220:221], a[20:21], v[224:227]// 000000004CC8: D3F300E0 1F8229DC
	v_mfma_f32_16x16x32_fp8_fp8 v[224:227], a[222:223], a[22:23], v[224:227]// 000000004CD0: D3F300E0 1F822DDE
	v_mfma_f32_16x16x32_fp8_fp8 v[236:239], a[224:225], a[16:17], v[236:239]// 000000004CD8: D3F300EC 1FB221E0
	s_add_u32 s60, 0x180, s80                                  // 000000004CE0: 803C50FF 00000180
	s_cmp_lt_u32 s60, s81                                      // 000000004CE8: BF0A513C
	s_cselect_b32 s57, s57, 0                                  // 000000004CEC: 85398039
	v_mfma_f32_16x16x32_fp8_fp8 v[236:239], a[226:227], a[18:19], v[236:239]// 000000004CF0: D3F300EC 1FB225E2
	s_add_u32 s60, 0x100, s80                                  // 000000004CF8: 803C50FF 00000100
	s_cmp_lt_u32 s60, s81                                      // 000000004D00: BF0A513C
	s_cselect_b32 s58, s58, 0                                  // 000000004D04: 853A803A
	v_mfma_f32_16x16x32_fp8_fp8 v[236:239], a[228:229], a[20:21], v[236:239]// 000000004D08: D3F300EC 1FB229E4
	s_add_u32 s60, 0x100, s80                                  // 000000004D10: 803C50FF 00000100
	s_cmp_lt_u32 s60, s81                                      // 000000004D18: BF0A513C
	s_cselect_b32 s83, s83, 0                                  // 000000004D1C: 85538053
	v_mfma_f32_16x16x32_fp8_fp8 v[236:239], a[230:231], a[22:23], v[236:239]// 000000004D20: D3F300EC 1FB22DE6
	s_add_u32 s24, s58, s24                                    // 000000004D28: 8018183A
	s_addc_u32 s25, 0, s25                                     // 000000004D2C: 82191980
	v_mfma_f32_16x16x32_fp8_fp8 v[248:251], a[232:233], a[16:17], v[248:251]// 000000004D30: D3F300F8 1FE221E8
	s_add_u32 s20, s57, s20                                    // 000000004D38: 80141439
	s_addc_u32 s21, 0, s21                                     // 000000004D3C: 82151580
	v_mfma_f32_16x16x32_fp8_fp8 v[248:251], a[234:235], a[18:19], v[248:251]// 000000004D40: D3F300F8 1FE225EA
	s_add_u32 s84, s83, s84                                    // 000000004D48: 80545453
	s_addc_u32 s85, 0, s85                                     // 000000004D4C: 82555580
	v_mfma_f32_16x16x32_fp8_fp8 v[248:251], a[236:237], a[20:21], v[248:251]// 000000004D50: D3F300F8 1FE229EC
	v_mfma_f32_16x16x32_fp8_fp8 v[248:251], a[238:239], a[22:23], v[248:251]// 000000004D58: D3F300F8 1FE22DEE
	s_addk_i32 s80, 0x80                                       // 000000004D60: B7500080
	s_cmp_lt_i32 s80, s81                                      // 000000004D64: BF045150
	s_cbranch_scc0 label_0ECD                                  // 000000004D68: BF8405F2
	s_waitcnt vmcnt(22) lgkmcnt(0)                             // 000000004D6C: BF8C4076
	v_mfma_f32_16x16x32_fp8_fp8 v[60:63], a[48:49], a[24:25], v[60:63]// 000000004D70: D3F3003C 1CF23130
	v_mfma_f32_16x16x32_fp8_fp8 v[60:63], a[50:51], a[26:27], v[60:63]// 000000004D78: D3F3003C 1CF23532
	buffer_load_dwordx4 a[176:179], v49, s[24:27], 0 offen     // 000000004D80: E05C1000 8086B031
	v_mfma_f32_16x16x32_fp8_fp8 v[60:63], a[52:53], a[28:29], v[60:63]// 000000004D88: D3F3003C 1CF23934
	v_mfma_f32_16x16x32_fp8_fp8 v[60:63], a[54:55], a[30:31], v[60:63]// 000000004D90: D3F3003C 1CF23D36
	v_mfma_f32_16x16x32_fp8_fp8 v[72:75], a[56:57], a[24:25], v[72:75]// 000000004D98: D3F30048 1D223138
	v_mfma_f32_16x16x32_fp8_fp8 v[72:75], a[58:59], a[26:27], v[72:75]// 000000004DA0: D3F30048 1D22353A
	buffer_load_dwordx4 a[180:183], v49, s[24:27], 0 offen offset:1024// 000000004DA8: E05C1400 8086B431
	v_mfma_f32_16x16x32_fp8_fp8 v[72:75], a[60:61], a[28:29], v[72:75]// 000000004DB0: D3F30048 1D22393C
	v_mfma_f32_16x16x32_fp8_fp8 v[72:75], a[62:63], a[30:31], v[72:75]// 000000004DB8: D3F30048 1D223D3E
	v_mfma_f32_16x16x32_fp8_fp8 v[84:87], a[64:65], a[24:25], v[84:87]// 000000004DC0: D3F30054 1D523140
	v_mfma_f32_16x16x32_fp8_fp8 v[84:87], a[66:67], a[26:27], v[84:87]// 000000004DC8: D3F30054 1D523542
	buffer_load_dwordx4 a[184:187], v50, s[24:27], 0 offen     // 000000004DD0: E05C1000 8086B832
	v_mfma_f32_16x16x32_fp8_fp8 v[84:87], a[68:69], a[28:29], v[84:87]// 000000004DD8: D3F30054 1D523944
	v_mfma_f32_16x16x32_fp8_fp8 v[84:87], a[70:71], a[30:31], v[84:87]// 000000004DE0: D3F30054 1D523D46
	v_mfma_f32_16x16x32_fp8_fp8 v[96:99], a[72:73], a[24:25], v[96:99]// 000000004DE8: D3F30060 1D823148
	v_mfma_f32_16x16x32_fp8_fp8 v[96:99], a[74:75], a[26:27], v[96:99]// 000000004DF0: D3F30060 1D82354A
	buffer_load_dwordx4 a[188:191], v50, s[24:27], 0 offen offset:1024// 000000004DF8: E05C1400 8086BC32
	v_mfma_f32_16x16x32_fp8_fp8 v[96:99], a[76:77], a[28:29], v[96:99]// 000000004E00: D3F30060 1D82394C
	v_mfma_f32_16x16x32_fp8_fp8 v[96:99], a[78:79], a[30:31], v[96:99]// 000000004E08: D3F30060 1D823D4E
	v_mfma_f32_16x16x32_fp8_fp8 v[108:111], a[80:81], a[24:25], v[108:111]// 000000004E10: D3F3006C 1DB23150
	v_mfma_f32_16x16x32_fp8_fp8 v[108:111], a[82:83], a[26:27], v[108:111]// 000000004E18: D3F3006C 1DB23552
	buffer_load_dwordx4 a[192:195], v51, s[24:27], 0 offen     // 000000004E20: E05C1000 8086C033
	v_mfma_f32_16x16x32_fp8_fp8 v[108:111], a[84:85], a[28:29], v[108:111]// 000000004E28: D3F3006C 1DB23954
	v_mfma_f32_16x16x32_fp8_fp8 v[108:111], a[86:87], a[30:31], v[108:111]// 000000004E30: D3F3006C 1DB23D56
	v_mfma_f32_16x16x32_fp8_fp8 v[120:123], a[88:89], a[24:25], v[120:123]// 000000004E38: D3F30078 1DE23158
	v_mfma_f32_16x16x32_fp8_fp8 v[120:123], a[90:91], a[26:27], v[120:123]// 000000004E40: D3F30078 1DE2355A
	buffer_load_dwordx4 a[196:199], v51, s[24:27], 0 offen offset:1024// 000000004E48: E05C1400 8086C433
	v_mfma_f32_16x16x32_fp8_fp8 v[120:123], a[92:93], a[28:29], v[120:123]// 000000004E50: D3F30078 1DE2395C
	v_mfma_f32_16x16x32_fp8_fp8 v[120:123], a[94:95], a[30:31], v[120:123]// 000000004E58: D3F30078 1DE23D5E
	v_mfma_f32_16x16x32_fp8_fp8 v[132:135], a[96:97], a[24:25], v[132:135]// 000000004E60: D3F30084 1E123160
	v_mfma_f32_16x16x32_fp8_fp8 v[132:135], a[98:99], a[26:27], v[132:135]// 000000004E68: D3F30084 1E123562
	buffer_load_dwordx4 a[200:203], v52, s[24:27], 0 offen     // 000000004E70: E05C1000 8086C834
	v_mfma_f32_16x16x32_fp8_fp8 v[132:135], a[100:101], a[28:29], v[132:135]// 000000004E78: D3F30084 1E123964
	v_mfma_f32_16x16x32_fp8_fp8 v[132:135], a[102:103], a[30:31], v[132:135]// 000000004E80: D3F30084 1E123D66
	v_mfma_f32_16x16x32_fp8_fp8 v[144:147], a[104:105], a[24:25], v[144:147]// 000000004E88: D3F30090 1E423168
	v_mfma_f32_16x16x32_fp8_fp8 v[144:147], a[106:107], a[26:27], v[144:147]// 000000004E90: D3F30090 1E42356A
	buffer_load_dwordx4 a[204:207], v52, s[24:27], 0 offen offset:1024// 000000004E98: E05C1400 8086CC34
	v_mfma_f32_16x16x32_fp8_fp8 v[144:147], a[108:109], a[28:29], v[144:147]// 000000004EA0: D3F30090 1E42396C
	v_mfma_f32_16x16x32_fp8_fp8 v[144:147], a[110:111], a[30:31], v[144:147]// 000000004EA8: D3F30090 1E423D6E
	v_mfma_f32_16x16x32_fp8_fp8 v[64:67], a[48:49], a[32:33], v[64:67]// 000000004EB0: D3F30040 1D024130
	v_mfma_f32_16x16x32_fp8_fp8 v[64:67], a[50:51], a[34:35], v[64:67]// 000000004EB8: D3F30040 1D024532
	buffer_load_dwordx4 a[208:211], v53, s[24:27], 0 offen     // 000000004EC0: E05C1000 8086D035
	v_mfma_f32_16x16x32_fp8_fp8 v[64:67], a[52:53], a[36:37], v[64:67]// 000000004EC8: D3F30040 1D024934
	v_mfma_f32_16x16x32_fp8_fp8 v[64:67], a[54:55], a[38:39], v[64:67]// 000000004ED0: D3F30040 1D024D36
	v_mfma_f32_16x16x32_fp8_fp8 v[76:79], a[56:57], a[32:33], v[76:79]// 000000004ED8: D3F3004C 1D324138
	v_mfma_f32_16x16x32_fp8_fp8 v[76:79], a[58:59], a[34:35], v[76:79]// 000000004EE0: D3F3004C 1D32453A
	buffer_load_dwordx4 a[212:215], v53, s[24:27], 0 offen offset:1024// 000000004EE8: E05C1400 8086D435
	v_mfma_f32_16x16x32_fp8_fp8 v[76:79], a[60:61], a[36:37], v[76:79]// 000000004EF0: D3F3004C 1D32493C
	v_mfma_f32_16x16x32_fp8_fp8 v[76:79], a[62:63], a[38:39], v[76:79]// 000000004EF8: D3F3004C 1D324D3E
	v_mfma_f32_16x16x32_fp8_fp8 v[88:91], a[64:65], a[32:33], v[88:91]// 000000004F00: D3F30058 1D624140
	v_mfma_f32_16x16x32_fp8_fp8 v[88:91], a[66:67], a[34:35], v[88:91]// 000000004F08: D3F30058 1D624542
	buffer_load_dwordx4 a[216:219], v54, s[24:27], 0 offen     // 000000004F10: E05C1000 8086D836
	v_mfma_f32_16x16x32_fp8_fp8 v[88:91], a[68:69], a[36:37], v[88:91]// 000000004F18: D3F30058 1D624944
	v_mfma_f32_16x16x32_fp8_fp8 v[88:91], a[70:71], a[38:39], v[88:91]// 000000004F20: D3F30058 1D624D46
	v_mfma_f32_16x16x32_fp8_fp8 v[100:103], a[72:73], a[32:33], v[100:103]// 000000004F28: D3F30064 1D924148
	v_mfma_f32_16x16x32_fp8_fp8 v[100:103], a[74:75], a[34:35], v[100:103]// 000000004F30: D3F30064 1D92454A
	buffer_load_dwordx4 a[220:223], v54, s[24:27], 0 offen offset:1024// 000000004F38: E05C1400 8086DC36
	v_mfma_f32_16x16x32_fp8_fp8 v[100:103], a[76:77], a[36:37], v[100:103]// 000000004F40: D3F30064 1D92494C
	v_mfma_f32_16x16x32_fp8_fp8 v[100:103], a[78:79], a[38:39], v[100:103]// 000000004F48: D3F30064 1D924D4E
	v_mfma_f32_16x16x32_fp8_fp8 v[112:115], a[80:81], a[32:33], v[112:115]// 000000004F50: D3F30070 1DC24150
	v_mfma_f32_16x16x32_fp8_fp8 v[112:115], a[82:83], a[34:35], v[112:115]// 000000004F58: D3F30070 1DC24552
	buffer_load_dwordx4 a[224:227], v55, s[24:27], 0 offen     // 000000004F60: E05C1000 8086E037
	v_mfma_f32_16x16x32_fp8_fp8 v[112:115], a[84:85], a[36:37], v[112:115]// 000000004F68: D3F30070 1DC24954
	v_mfma_f32_16x16x32_fp8_fp8 v[112:115], a[86:87], a[38:39], v[112:115]// 000000004F70: D3F30070 1DC24D56
	v_mfma_f32_16x16x32_fp8_fp8 v[124:127], a[88:89], a[32:33], v[124:127]// 000000004F78: D3F3007C 1DF24158
	v_mfma_f32_16x16x32_fp8_fp8 v[124:127], a[90:91], a[34:35], v[124:127]// 000000004F80: D3F3007C 1DF2455A
	buffer_load_dwordx4 a[228:231], v55, s[24:27], 0 offen offset:1024// 000000004F88: E05C1400 8086E437
	v_mfma_f32_16x16x32_fp8_fp8 v[124:127], a[92:93], a[36:37], v[124:127]// 000000004F90: D3F3007C 1DF2495C
	v_mfma_f32_16x16x32_fp8_fp8 v[124:127], a[94:95], a[38:39], v[124:127]// 000000004F98: D3F3007C 1DF24D5E
	v_mfma_f32_16x16x32_fp8_fp8 v[136:139], a[96:97], a[32:33], v[136:139]// 000000004FA0: D3F30088 1E224160
	v_mfma_f32_16x16x32_fp8_fp8 v[136:139], a[98:99], a[34:35], v[136:139]// 000000004FA8: D3F30088 1E224562
	buffer_load_dwordx4 a[232:235], v56, s[24:27], 0 offen     // 000000004FB0: E05C1000 8086E838
	v_mfma_f32_16x16x32_fp8_fp8 v[136:139], a[100:101], a[36:37], v[136:139]// 000000004FB8: D3F30088 1E224964
	v_mfma_f32_16x16x32_fp8_fp8 v[136:139], a[102:103], a[38:39], v[136:139]// 000000004FC0: D3F30088 1E224D66
	v_mfma_f32_16x16x32_fp8_fp8 v[148:151], a[104:105], a[32:33], v[148:151]// 000000004FC8: D3F30094 1E524168
	v_mfma_f32_16x16x32_fp8_fp8 v[148:151], a[106:107], a[34:35], v[148:151]// 000000004FD0: D3F30094 1E52456A
	buffer_load_dwordx4 a[236:239], v56, s[24:27], 0 offen offset:1024// 000000004FD8: E05C1400 8086EC38
	buffer_load_dword v43, s[20:23], 0 offen lds               // 000000004FE0: E0511000 8005002B
	s_add_u32 m0, 0x100, s50                                   // 000000004FE8: 807C32FF 00000100
	v_mfma_f32_16x16x32_fp8_fp8 v[148:151], a[108:109], a[36:37], v[148:151]// 000000004FF0: D3F30094 1E52496C
	v_mfma_f32_16x16x32_fp8_fp8 v[148:151], a[110:111], a[38:39], v[148:151]// 000000004FF8: D3F30094 1E524D6E
	buffer_load_dword v44, s[20:23], 0 offen lds               // 000000005000: E0511000 8005002C
	s_add_u32 m0, 0x200, s50                                   // 000000005008: 807C32FF 00000200
	v_mfma_f32_16x16x32_fp8_fp8 v[68:71], a[48:49], a[40:41], v[68:71]// 000000005010: D3F30044 1D125130
	v_mfma_f32_16x16x32_fp8_fp8 v[68:71], a[50:51], a[42:43], v[68:71]// 000000005018: D3F30044 1D125532
	buffer_load_dword v45, s[20:23], 0 offen lds               // 000000005020: E0511000 8005002D
	s_add_u32 m0, 0x300, s50                                   // 000000005028: 807C32FF 00000300
	v_mfma_f32_16x16x32_fp8_fp8 v[68:71], a[52:53], a[44:45], v[68:71]// 000000005030: D3F30044 1D125934
	v_mfma_f32_16x16x32_fp8_fp8 v[68:71], a[54:55], a[46:47], v[68:71]// 000000005038: D3F30044 1D125D36
	buffer_load_dword v46, s[20:23], 0 offen lds               // 000000005040: E0511000 8005002E
	s_add_u32 m0, 0x400, s50                                   // 000000005048: 807C32FF 00000400
	v_mfma_f32_16x16x32_fp8_fp8 v[80:83], a[56:57], a[40:41], v[80:83]// 000000005050: D3F30050 1D425138
	v_mfma_f32_16x16x32_fp8_fp8 v[80:83], a[58:59], a[42:43], v[80:83]// 000000005058: D3F30050 1D42553A
	buffer_load_dword v47, s[20:23], 0 offen lds               // 000000005060: E0511000 8005002F
	s_add_u32 m0, 0x500, s50                                   // 000000005068: 807C32FF 00000500
	v_mfma_f32_16x16x32_fp8_fp8 v[80:83], a[60:61], a[44:45], v[80:83]// 000000005070: D3F30050 1D42593C
	v_mfma_f32_16x16x32_fp8_fp8 v[80:83], a[62:63], a[46:47], v[80:83]// 000000005078: D3F30050 1D425D3E
	buffer_load_dword v48, s[20:23], 0 offen lds               // 000000005080: E0511000 80050030
	s_add_u32 m0, 0, s48                                       // 000000005088: 807C3080
	v_mfma_f32_16x16x32_fp8_fp8 v[92:95], a[64:65], a[40:41], v[92:95]// 00000000508C: D3F3005C 1D725140
	v_mfma_f32_16x16x32_fp8_fp8 v[92:95], a[66:67], a[42:43], v[92:95]// 000000005094: D3F3005C 1D725542
	v_mfma_f32_16x16x32_fp8_fp8 v[92:95], a[68:69], a[44:45], v[92:95]// 00000000509C: D3F3005C 1D725944
	v_mfma_f32_16x16x32_fp8_fp8 v[92:95], a[70:71], a[46:47], v[92:95]// 0000000050A4: D3F3005C 1D725D46
	v_mfma_f32_16x16x32_fp8_fp8 v[104:107], a[72:73], a[40:41], v[104:107]// 0000000050AC: D3F30068 1DA25148
	v_mfma_f32_16x16x32_fp8_fp8 v[104:107], a[74:75], a[42:43], v[104:107]// 0000000050B4: D3F30068 1DA2554A
	v_mfma_f32_16x16x32_fp8_fp8 v[104:107], a[76:77], a[44:45], v[104:107]// 0000000050BC: D3F30068 1DA2594C
	v_mfma_f32_16x16x32_fp8_fp8 v[104:107], a[78:79], a[46:47], v[104:107]// 0000000050C4: D3F30068 1DA25D4E
	v_mfma_f32_16x16x32_fp8_fp8 v[116:119], a[80:81], a[40:41], v[116:119]// 0000000050CC: D3F30074 1DD25150
	v_mfma_f32_16x16x32_fp8_fp8 v[116:119], a[82:83], a[42:43], v[116:119]// 0000000050D4: D3F30074 1DD25552
	v_mfma_f32_16x16x32_fp8_fp8 v[116:119], a[84:85], a[44:45], v[116:119]// 0000000050DC: D3F30074 1DD25954
	v_mfma_f32_16x16x32_fp8_fp8 v[116:119], a[86:87], a[46:47], v[116:119]// 0000000050E4: D3F30074 1DD25D56
	v_mfma_f32_16x16x32_fp8_fp8 v[128:131], a[88:89], a[40:41], v[128:131]// 0000000050EC: D3F30080 1E025158
	v_mfma_f32_16x16x32_fp8_fp8 v[128:131], a[90:91], a[42:43], v[128:131]// 0000000050F4: D3F30080 1E02555A
	v_mfma_f32_16x16x32_fp8_fp8 v[128:131], a[92:93], a[44:45], v[128:131]// 0000000050FC: D3F30080 1E02595C
	v_mfma_f32_16x16x32_fp8_fp8 v[128:131], a[94:95], a[46:47], v[128:131]// 000000005104: D3F30080 1E025D5E
	v_mfma_f32_16x16x32_fp8_fp8 v[140:143], a[96:97], a[40:41], v[140:143]// 00000000510C: D3F3008C 1E325160
	v_mfma_f32_16x16x32_fp8_fp8 v[140:143], a[98:99], a[42:43], v[140:143]// 000000005114: D3F3008C 1E325562
	v_mfma_f32_16x16x32_fp8_fp8 v[140:143], a[100:101], a[44:45], v[140:143]// 00000000511C: D3F3008C 1E325964
	v_mfma_f32_16x16x32_fp8_fp8 v[140:143], a[102:103], a[46:47], v[140:143]// 000000005124: D3F3008C 1E325D66
	v_mfma_f32_16x16x32_fp8_fp8 v[152:155], a[104:105], a[40:41], v[152:155]// 00000000512C: D3F30098 1E625168
	v_mfma_f32_16x16x32_fp8_fp8 v[152:155], a[106:107], a[42:43], v[152:155]// 000000005134: D3F30098 1E62556A
	v_mfma_f32_16x16x32_fp8_fp8 v[152:155], a[108:109], a[44:45], v[152:155]// 00000000513C: D3F30098 1E62596C
	v_mfma_f32_16x16x32_fp8_fp8 v[152:155], a[110:111], a[46:47], v[152:155]// 000000005144: D3F30098 1E625D6E
	s_waitcnt vmcnt(22)                                        // 00000000514C: BF8C4F76
	s_barrier                                                  // 000000005150: BF8A0000
	v_mfma_f32_16x16x32_fp8_fp8 v[156:159], a[112:113], a[24:25], v[156:159]// 000000005154: D3F3009C 1E723170
	v_mfma_f32_16x16x32_fp8_fp8 v[156:159], a[114:115], a[26:27], v[156:159]// 00000000515C: D3F3009C 1E723572
	buffer_load_dwordx4 a[48:51], v49, s[84:87], 0 offen       // 000000005164: E05C1000 80953031
	v_mfma_f32_16x16x32_fp8_fp8 v[156:159], a[116:117], a[28:29], v[156:159]// 00000000516C: D3F3009C 1E723974
	v_mfma_f32_16x16x32_fp8_fp8 v[156:159], a[118:119], a[30:31], v[156:159]// 000000005174: D3F3009C 1E723D76
	ds_read_b128 a[0:3], v2 offset:6272                        // 00000000517C: DBFE1880 00000002
	ds_read_b128 a[4:7], v2 offset:6336                        // 000000005184: DBFE18C0 04000002
	v_mfma_f32_16x16x32_fp8_fp8 v[168:171], a[120:121], a[24:25], v[168:171]// 00000000518C: D3F300A8 1EA23178
	v_mfma_f32_16x16x32_fp8_fp8 v[168:171], a[122:123], a[26:27], v[168:171]// 000000005194: D3F300A8 1EA2357A
	buffer_load_dwordx4 a[52:55], v49, s[84:87], 0 offen offset:1024// 00000000519C: E05C1400 80953431
	v_mfma_f32_16x16x32_fp8_fp8 v[168:171], a[124:125], a[28:29], v[168:171]// 0000000051A4: D3F300A8 1EA2397C
	v_mfma_f32_16x16x32_fp8_fp8 v[168:171], a[126:127], a[30:31], v[168:171]// 0000000051AC: D3F300A8 1EA23D7E
	ds_read_b128 a[8:11], v2 offset:6784                       // 0000000051B4: DBFE1A80 08000002
	ds_read_b128 a[12:15], v2 offset:6848                      // 0000000051BC: DBFE1AC0 0C000002
	v_mfma_f32_16x16x32_fp8_fp8 v[180:183], a[128:129], a[24:25], v[180:183]// 0000000051C4: D3F300B4 1ED23180
	v_mfma_f32_16x16x32_fp8_fp8 v[180:183], a[130:131], a[26:27], v[180:183]// 0000000051CC: D3F300B4 1ED23582
	buffer_load_dwordx4 a[56:59], v50, s[84:87], 0 offen       // 0000000051D4: E05C1000 80953832
	v_mfma_f32_16x16x32_fp8_fp8 v[180:183], a[132:133], a[28:29], v[180:183]// 0000000051DC: D3F300B4 1ED23984
	v_mfma_f32_16x16x32_fp8_fp8 v[180:183], a[134:135], a[30:31], v[180:183]// 0000000051E4: D3F300B4 1ED23D86
	ds_read_b128 a[16:19], v2 offset:7296                      // 0000000051EC: DBFE1C80 10000002
	ds_read_b128 a[20:23], v2 offset:7360                      // 0000000051F4: DBFE1CC0 14000002
	v_mfma_f32_16x16x32_fp8_fp8 v[192:195], a[136:137], a[24:25], v[192:195]// 0000000051FC: D3F300C0 1F023188
	v_mfma_f32_16x16x32_fp8_fp8 v[192:195], a[138:139], a[26:27], v[192:195]// 000000005204: D3F300C0 1F02358A
	buffer_load_dwordx4 a[60:63], v50, s[84:87], 0 offen offset:1024// 00000000520C: E05C1400 80953C32
	v_mfma_f32_16x16x32_fp8_fp8 v[192:195], a[140:141], a[28:29], v[192:195]// 000000005214: D3F300C0 1F02398C
	v_mfma_f32_16x16x32_fp8_fp8 v[192:195], a[142:143], a[30:31], v[192:195]// 00000000521C: D3F300C0 1F023D8E
	v_mfma_f32_16x16x32_fp8_fp8 v[204:207], a[144:145], a[24:25], v[204:207]// 000000005224: D3F300CC 1F323190
	v_mfma_f32_16x16x32_fp8_fp8 v[204:207], a[146:147], a[26:27], v[204:207]// 00000000522C: D3F300CC 1F323592
	buffer_load_dwordx4 a[64:67], v51, s[84:87], 0 offen       // 000000005234: E05C1000 80954033
	v_mfma_f32_16x16x32_fp8_fp8 v[204:207], a[148:149], a[28:29], v[204:207]// 00000000523C: D3F300CC 1F323994
	v_mfma_f32_16x16x32_fp8_fp8 v[204:207], a[150:151], a[30:31], v[204:207]// 000000005244: D3F300CC 1F323D96
	v_mfma_f32_16x16x32_fp8_fp8 v[216:219], a[152:153], a[24:25], v[216:219]// 00000000524C: D3F300D8 1F623198
	v_mfma_f32_16x16x32_fp8_fp8 v[216:219], a[154:155], a[26:27], v[216:219]// 000000005254: D3F300D8 1F62359A
	buffer_load_dwordx4 a[68:71], v51, s[84:87], 0 offen offset:1024// 00000000525C: E05C1400 80954433
	v_mfma_f32_16x16x32_fp8_fp8 v[216:219], a[156:157], a[28:29], v[216:219]// 000000005264: D3F300D8 1F62399C
	v_mfma_f32_16x16x32_fp8_fp8 v[216:219], a[158:159], a[30:31], v[216:219]// 00000000526C: D3F300D8 1F623D9E
	v_mfma_f32_16x16x32_fp8_fp8 v[228:231], a[160:161], a[24:25], v[228:231]// 000000005274: D3F300E4 1F9231A0
	v_mfma_f32_16x16x32_fp8_fp8 v[228:231], a[162:163], a[26:27], v[228:231]// 00000000527C: D3F300E4 1F9235A2
	buffer_load_dwordx4 a[72:75], v52, s[84:87], 0 offen       // 000000005284: E05C1000 80954834
	v_mfma_f32_16x16x32_fp8_fp8 v[228:231], a[164:165], a[28:29], v[228:231]// 00000000528C: D3F300E4 1F9239A4
	v_mfma_f32_16x16x32_fp8_fp8 v[228:231], a[166:167], a[30:31], v[228:231]// 000000005294: D3F300E4 1F923DA6
	v_mfma_f32_16x16x32_fp8_fp8 v[240:243], a[168:169], a[24:25], v[240:243]// 00000000529C: D3F300F0 1FC231A8
	v_mfma_f32_16x16x32_fp8_fp8 v[240:243], a[170:171], a[26:27], v[240:243]// 0000000052A4: D3F300F0 1FC235AA
	buffer_load_dwordx4 a[76:79], v52, s[84:87], 0 offen offset:1024// 0000000052AC: E05C1400 80954C34
	v_mfma_f32_16x16x32_fp8_fp8 v[240:243], a[172:173], a[28:29], v[240:243]// 0000000052B4: D3F300F0 1FC239AC
	v_mfma_f32_16x16x32_fp8_fp8 v[240:243], a[174:175], a[30:31], v[240:243]// 0000000052BC: D3F300F0 1FC23DAE
	v_mfma_f32_16x16x32_fp8_fp8 v[160:163], a[112:113], a[32:33], v[160:163]// 0000000052C4: D3F300A0 1E824170
	v_mfma_f32_16x16x32_fp8_fp8 v[160:163], a[114:115], a[34:35], v[160:163]// 0000000052CC: D3F300A0 1E824572
	buffer_load_dwordx4 a[80:83], v53, s[84:87], 0 offen       // 0000000052D4: E05C1000 80955035
	v_mfma_f32_16x16x32_fp8_fp8 v[160:163], a[116:117], a[36:37], v[160:163]// 0000000052DC: D3F300A0 1E824974
	v_mfma_f32_16x16x32_fp8_fp8 v[160:163], a[118:119], a[38:39], v[160:163]// 0000000052E4: D3F300A0 1E824D76
	v_mfma_f32_16x16x32_fp8_fp8 v[172:175], a[120:121], a[32:33], v[172:175]// 0000000052EC: D3F300AC 1EB24178
	v_mfma_f32_16x16x32_fp8_fp8 v[172:175], a[122:123], a[34:35], v[172:175]// 0000000052F4: D3F300AC 1EB2457A
	buffer_load_dwordx4 a[84:87], v53, s[84:87], 0 offen offset:1024// 0000000052FC: E05C1400 80955435
	v_mfma_f32_16x16x32_fp8_fp8 v[172:175], a[124:125], a[36:37], v[172:175]// 000000005304: D3F300AC 1EB2497C
	v_mfma_f32_16x16x32_fp8_fp8 v[172:175], a[126:127], a[38:39], v[172:175]// 00000000530C: D3F300AC 1EB24D7E
	v_mfma_f32_16x16x32_fp8_fp8 v[184:187], a[128:129], a[32:33], v[184:187]// 000000005314: D3F300B8 1EE24180
	v_mfma_f32_16x16x32_fp8_fp8 v[184:187], a[130:131], a[34:35], v[184:187]// 00000000531C: D3F300B8 1EE24582
	buffer_load_dwordx4 a[88:91], v54, s[84:87], 0 offen       // 000000005324: E05C1000 80955836
	v_mfma_f32_16x16x32_fp8_fp8 v[184:187], a[132:133], a[36:37], v[184:187]// 00000000532C: D3F300B8 1EE24984
	v_mfma_f32_16x16x32_fp8_fp8 v[184:187], a[134:135], a[38:39], v[184:187]// 000000005334: D3F300B8 1EE24D86
	v_mfma_f32_16x16x32_fp8_fp8 v[196:199], a[136:137], a[32:33], v[196:199]// 00000000533C: D3F300C4 1F124188
	v_mfma_f32_16x16x32_fp8_fp8 v[196:199], a[138:139], a[34:35], v[196:199]// 000000005344: D3F300C4 1F12458A
	buffer_load_dwordx4 a[92:95], v54, s[84:87], 0 offen offset:1024// 00000000534C: E05C1400 80955C36
	v_mfma_f32_16x16x32_fp8_fp8 v[196:199], a[140:141], a[36:37], v[196:199]// 000000005354: D3F300C4 1F12498C
	v_mfma_f32_16x16x32_fp8_fp8 v[196:199], a[142:143], a[38:39], v[196:199]// 00000000535C: D3F300C4 1F124D8E
	v_mfma_f32_16x16x32_fp8_fp8 v[208:211], a[144:145], a[32:33], v[208:211]// 000000005364: D3F300D0 1F424190
	v_mfma_f32_16x16x32_fp8_fp8 v[208:211], a[146:147], a[34:35], v[208:211]// 00000000536C: D3F300D0 1F424592
	buffer_load_dwordx4 a[96:99], v55, s[84:87], 0 offen       // 000000005374: E05C1000 80956037
	v_mfma_f32_16x16x32_fp8_fp8 v[208:211], a[148:149], a[36:37], v[208:211]// 00000000537C: D3F300D0 1F424994
	v_mfma_f32_16x16x32_fp8_fp8 v[208:211], a[150:151], a[38:39], v[208:211]// 000000005384: D3F300D0 1F424D96
	v_mfma_f32_16x16x32_fp8_fp8 v[220:223], a[152:153], a[32:33], v[220:223]// 00000000538C: D3F300DC 1F724198
	v_mfma_f32_16x16x32_fp8_fp8 v[220:223], a[154:155], a[34:35], v[220:223]// 000000005394: D3F300DC 1F72459A
	buffer_load_dwordx4 a[100:103], v55, s[84:87], 0 offen offset:1024// 00000000539C: E05C1400 80956437
	v_mfma_f32_16x16x32_fp8_fp8 v[220:223], a[156:157], a[36:37], v[220:223]// 0000000053A4: D3F300DC 1F72499C
	v_mfma_f32_16x16x32_fp8_fp8 v[220:223], a[158:159], a[38:39], v[220:223]// 0000000053AC: D3F300DC 1F724D9E
	v_mfma_f32_16x16x32_fp8_fp8 v[232:235], a[160:161], a[32:33], v[232:235]// 0000000053B4: D3F300E8 1FA241A0
	v_mfma_f32_16x16x32_fp8_fp8 v[232:235], a[162:163], a[34:35], v[232:235]// 0000000053BC: D3F300E8 1FA245A2
	buffer_load_dwordx4 a[104:107], v56, s[84:87], 0 offen     // 0000000053C4: E05C1000 80956838
	v_mfma_f32_16x16x32_fp8_fp8 v[232:235], a[164:165], a[36:37], v[232:235]// 0000000053CC: D3F300E8 1FA249A4
	v_mfma_f32_16x16x32_fp8_fp8 v[232:235], a[166:167], a[38:39], v[232:235]// 0000000053D4: D3F300E8 1FA24DA6
	v_mfma_f32_16x16x32_fp8_fp8 v[244:247], a[168:169], a[32:33], v[244:247]// 0000000053DC: D3F300F4 1FD241A8
	v_mfma_f32_16x16x32_fp8_fp8 v[244:247], a[170:171], a[34:35], v[244:247]// 0000000053E4: D3F300F4 1FD245AA
	buffer_load_dwordx4 a[108:111], v56, s[84:87], 0 offen offset:1024// 0000000053EC: E05C1400 80956C38
	v_mfma_f32_16x16x32_fp8_fp8 v[244:247], a[172:173], a[36:37], v[244:247]// 0000000053F4: D3F300F4 1FD249AC
	v_mfma_f32_16x16x32_fp8_fp8 v[244:247], a[174:175], a[38:39], v[244:247]// 0000000053FC: D3F300F4 1FD24DAE
	v_mfma_f32_16x16x32_fp8_fp8 v[164:167], a[112:113], a[40:41], v[164:167]// 000000005404: D3F300A4 1E925170
	v_mfma_f32_16x16x32_fp8_fp8 v[164:167], a[114:115], a[42:43], v[164:167]// 00000000540C: D3F300A4 1E925572
	v_mfma_f32_16x16x32_fp8_fp8 v[164:167], a[116:117], a[44:45], v[164:167]// 000000005414: D3F300A4 1E925974
	v_mfma_f32_16x16x32_fp8_fp8 v[164:167], a[118:119], a[46:47], v[164:167]// 00000000541C: D3F300A4 1E925D76
	v_mfma_f32_16x16x32_fp8_fp8 v[176:179], a[120:121], a[40:41], v[176:179]// 000000005424: D3F300B0 1EC25178
	v_mfma_f32_16x16x32_fp8_fp8 v[176:179], a[122:123], a[42:43], v[176:179]// 00000000542C: D3F300B0 1EC2557A
	v_mfma_f32_16x16x32_fp8_fp8 v[176:179], a[124:125], a[44:45], v[176:179]// 000000005434: D3F300B0 1EC2597C
	v_mfma_f32_16x16x32_fp8_fp8 v[176:179], a[126:127], a[46:47], v[176:179]// 00000000543C: D3F300B0 1EC25D7E
	v_mfma_f32_16x16x32_fp8_fp8 v[188:191], a[128:129], a[40:41], v[188:191]// 000000005444: D3F300BC 1EF25180
	v_mfma_f32_16x16x32_fp8_fp8 v[188:191], a[130:131], a[42:43], v[188:191]// 00000000544C: D3F300BC 1EF25582
	v_mfma_f32_16x16x32_fp8_fp8 v[188:191], a[132:133], a[44:45], v[188:191]// 000000005454: D3F300BC 1EF25984
	v_mfma_f32_16x16x32_fp8_fp8 v[188:191], a[134:135], a[46:47], v[188:191]// 00000000545C: D3F300BC 1EF25D86
	v_mfma_f32_16x16x32_fp8_fp8 v[200:203], a[136:137], a[40:41], v[200:203]// 000000005464: D3F300C8 1F225188
	v_mfma_f32_16x16x32_fp8_fp8 v[200:203], a[138:139], a[42:43], v[200:203]// 00000000546C: D3F300C8 1F22558A
	v_mfma_f32_16x16x32_fp8_fp8 v[200:203], a[140:141], a[44:45], v[200:203]// 000000005474: D3F300C8 1F22598C
	v_mfma_f32_16x16x32_fp8_fp8 v[200:203], a[142:143], a[46:47], v[200:203]// 00000000547C: D3F300C8 1F225D8E
	v_mfma_f32_16x16x32_fp8_fp8 v[212:215], a[144:145], a[40:41], v[212:215]// 000000005484: D3F300D4 1F525190
	v_mfma_f32_16x16x32_fp8_fp8 v[212:215], a[146:147], a[42:43], v[212:215]// 00000000548C: D3F300D4 1F525592
	v_mfma_f32_16x16x32_fp8_fp8 v[212:215], a[148:149], a[44:45], v[212:215]// 000000005494: D3F300D4 1F525994
	v_mfma_f32_16x16x32_fp8_fp8 v[212:215], a[150:151], a[46:47], v[212:215]// 00000000549C: D3F300D4 1F525D96
	v_mfma_f32_16x16x32_fp8_fp8 v[224:227], a[152:153], a[40:41], v[224:227]// 0000000054A4: D3F300E0 1F825198
	v_mfma_f32_16x16x32_fp8_fp8 v[224:227], a[154:155], a[42:43], v[224:227]// 0000000054AC: D3F300E0 1F82559A
	v_mfma_f32_16x16x32_fp8_fp8 v[224:227], a[156:157], a[44:45], v[224:227]// 0000000054B4: D3F300E0 1F82599C
	v_mfma_f32_16x16x32_fp8_fp8 v[224:227], a[158:159], a[46:47], v[224:227]// 0000000054BC: D3F300E0 1F825D9E
	v_mfma_f32_16x16x32_fp8_fp8 v[236:239], a[160:161], a[40:41], v[236:239]// 0000000054C4: D3F300EC 1FB251A0
	s_add_u32 s60, 0x180, s80                                  // 0000000054CC: 803C50FF 00000180
	s_cmp_lt_u32 s60, s81                                      // 0000000054D4: BF0A513C
	s_cselect_b32 s57, s57, 0                                  // 0000000054D8: 85398039
	v_mfma_f32_16x16x32_fp8_fp8 v[236:239], a[162:163], a[42:43], v[236:239]// 0000000054DC: D3F300EC 1FB255A2
	s_add_u32 s60, 0x100, s80                                  // 0000000054E4: 803C50FF 00000100
	s_cmp_lt_u32 s60, s81                                      // 0000000054EC: BF0A513C
	s_cselect_b32 s58, s58, 0                                  // 0000000054F0: 853A803A
	v_mfma_f32_16x16x32_fp8_fp8 v[236:239], a[164:165], a[44:45], v[236:239]// 0000000054F4: D3F300EC 1FB259A4
	s_add_u32 s60, 0x100, s80                                  // 0000000054FC: 803C50FF 00000100
	s_cmp_lt_u32 s60, s81                                      // 000000005504: BF0A513C
	s_cselect_b32 s83, s83, 0                                  // 000000005508: 85538053
	v_mfma_f32_16x16x32_fp8_fp8 v[236:239], a[166:167], a[46:47], v[236:239]// 00000000550C: D3F300EC 1FB25DA6
	s_add_u32 s24, s58, s24                                    // 000000005514: 8018183A
	s_addc_u32 s25, 0, s25                                     // 000000005518: 82191980
	v_mfma_f32_16x16x32_fp8_fp8 v[248:251], a[168:169], a[40:41], v[248:251]// 00000000551C: D3F300F8 1FE251A8
	s_add_u32 s20, s57, s20                                    // 000000005524: 80141439
	s_addc_u32 s21, 0, s21                                     // 000000005528: 82151580
	v_mfma_f32_16x16x32_fp8_fp8 v[248:251], a[170:171], a[42:43], v[248:251]// 00000000552C: D3F300F8 1FE255AA
	s_add_u32 s84, s83, s84                                    // 000000005534: 80545453
	s_addc_u32 s85, 0, s85                                     // 000000005538: 82555580
	v_mfma_f32_16x16x32_fp8_fp8 v[248:251], a[172:173], a[44:45], v[248:251]// 00000000553C: D3F300F8 1FE259AC
	v_mfma_f32_16x16x32_fp8_fp8 v[248:251], a[174:175], a[46:47], v[248:251]// 000000005544: D3F300F8 1FE25DAE
	s_addk_i32 s80, 0x80                                       // 00000000554C: B7500080
	s_cmp_lt_i32 s80, s81                                      // 000000005550: BF045150
	s_cbranch_scc0 label_0ECD                                  // 000000005554: BF8403F7
	s_waitcnt vmcnt(22) lgkmcnt(0)                             // 000000005558: BF8C4076
	v_mfma_f32_16x16x32_fp8_fp8 v[60:63], a[176:177], a[0:1], v[60:63]// 00000000555C: D3F3003C 1CF201B0
	v_mfma_f32_16x16x32_fp8_fp8 v[60:63], a[178:179], a[2:3], v[60:63]// 000000005564: D3F3003C 1CF205B2
	buffer_load_dwordx4 a[112:115], v49, s[24:27], 0 offen     // 00000000556C: E05C1000 80867031
	v_mfma_f32_16x16x32_fp8_fp8 v[60:63], a[180:181], a[4:5], v[60:63]// 000000005574: D3F3003C 1CF209B4
	v_mfma_f32_16x16x32_fp8_fp8 v[60:63], a[182:183], a[6:7], v[60:63]// 00000000557C: D3F3003C 1CF20DB6
	v_mfma_f32_16x16x32_fp8_fp8 v[72:75], a[184:185], a[0:1], v[72:75]// 000000005584: D3F30048 1D2201B8
	v_mfma_f32_16x16x32_fp8_fp8 v[72:75], a[186:187], a[2:3], v[72:75]// 00000000558C: D3F30048 1D2205BA
	buffer_load_dwordx4 a[116:119], v49, s[24:27], 0 offen offset:1024// 000000005594: E05C1400 80867431
	v_mfma_f32_16x16x32_fp8_fp8 v[72:75], a[188:189], a[4:5], v[72:75]// 00000000559C: D3F30048 1D2209BC
	v_mfma_f32_16x16x32_fp8_fp8 v[72:75], a[190:191], a[6:7], v[72:75]// 0000000055A4: D3F30048 1D220DBE
	v_mfma_f32_16x16x32_fp8_fp8 v[84:87], a[192:193], a[0:1], v[84:87]// 0000000055AC: D3F30054 1D5201C0
	v_mfma_f32_16x16x32_fp8_fp8 v[84:87], a[194:195], a[2:3], v[84:87]// 0000000055B4: D3F30054 1D5205C2
	buffer_load_dwordx4 a[120:123], v50, s[24:27], 0 offen     // 0000000055BC: E05C1000 80867832
	v_mfma_f32_16x16x32_fp8_fp8 v[84:87], a[196:197], a[4:5], v[84:87]// 0000000055C4: D3F30054 1D5209C4
	v_mfma_f32_16x16x32_fp8_fp8 v[84:87], a[198:199], a[6:7], v[84:87]// 0000000055CC: D3F30054 1D520DC6
	v_mfma_f32_16x16x32_fp8_fp8 v[96:99], a[200:201], a[0:1], v[96:99]// 0000000055D4: D3F30060 1D8201C8
	v_mfma_f32_16x16x32_fp8_fp8 v[96:99], a[202:203], a[2:3], v[96:99]// 0000000055DC: D3F30060 1D8205CA
	buffer_load_dwordx4 a[124:127], v50, s[24:27], 0 offen offset:1024// 0000000055E4: E05C1400 80867C32
	v_mfma_f32_16x16x32_fp8_fp8 v[96:99], a[204:205], a[4:5], v[96:99]// 0000000055EC: D3F30060 1D8209CC
	v_mfma_f32_16x16x32_fp8_fp8 v[96:99], a[206:207], a[6:7], v[96:99]// 0000000055F4: D3F30060 1D820DCE
	v_mfma_f32_16x16x32_fp8_fp8 v[108:111], a[208:209], a[0:1], v[108:111]// 0000000055FC: D3F3006C 1DB201D0
	v_mfma_f32_16x16x32_fp8_fp8 v[108:111], a[210:211], a[2:3], v[108:111]// 000000005604: D3F3006C 1DB205D2
	buffer_load_dwordx4 a[128:131], v51, s[24:27], 0 offen     // 00000000560C: E05C1000 80868033
	v_mfma_f32_16x16x32_fp8_fp8 v[108:111], a[212:213], a[4:5], v[108:111]// 000000005614: D3F3006C 1DB209D4
	v_mfma_f32_16x16x32_fp8_fp8 v[108:111], a[214:215], a[6:7], v[108:111]// 00000000561C: D3F3006C 1DB20DD6
	v_mfma_f32_16x16x32_fp8_fp8 v[120:123], a[216:217], a[0:1], v[120:123]// 000000005624: D3F30078 1DE201D8
	v_mfma_f32_16x16x32_fp8_fp8 v[120:123], a[218:219], a[2:3], v[120:123]// 00000000562C: D3F30078 1DE205DA
	buffer_load_dwordx4 a[132:135], v51, s[24:27], 0 offen offset:1024// 000000005634: E05C1400 80868433
	v_mfma_f32_16x16x32_fp8_fp8 v[120:123], a[220:221], a[4:5], v[120:123]// 00000000563C: D3F30078 1DE209DC
	v_mfma_f32_16x16x32_fp8_fp8 v[120:123], a[222:223], a[6:7], v[120:123]// 000000005644: D3F30078 1DE20DDE
	v_mfma_f32_16x16x32_fp8_fp8 v[132:135], a[224:225], a[0:1], v[132:135]// 00000000564C: D3F30084 1E1201E0
	v_mfma_f32_16x16x32_fp8_fp8 v[132:135], a[226:227], a[2:3], v[132:135]// 000000005654: D3F30084 1E1205E2
	buffer_load_dwordx4 a[136:139], v52, s[24:27], 0 offen     // 00000000565C: E05C1000 80868834
	v_mfma_f32_16x16x32_fp8_fp8 v[132:135], a[228:229], a[4:5], v[132:135]// 000000005664: D3F30084 1E1209E4
	v_mfma_f32_16x16x32_fp8_fp8 v[132:135], a[230:231], a[6:7], v[132:135]// 00000000566C: D3F30084 1E120DE6
	v_mfma_f32_16x16x32_fp8_fp8 v[144:147], a[232:233], a[0:1], v[144:147]// 000000005674: D3F30090 1E4201E8
	v_mfma_f32_16x16x32_fp8_fp8 v[144:147], a[234:235], a[2:3], v[144:147]// 00000000567C: D3F30090 1E4205EA
	buffer_load_dwordx4 a[140:143], v52, s[24:27], 0 offen offset:1024// 000000005684: E05C1400 80868C34
	v_mfma_f32_16x16x32_fp8_fp8 v[144:147], a[236:237], a[4:5], v[144:147]// 00000000568C: D3F30090 1E4209EC
	v_mfma_f32_16x16x32_fp8_fp8 v[144:147], a[238:239], a[6:7], v[144:147]// 000000005694: D3F30090 1E420DEE
	v_mfma_f32_16x16x32_fp8_fp8 v[64:67], a[176:177], a[8:9], v[64:67]// 00000000569C: D3F30040 1D0211B0
	v_mfma_f32_16x16x32_fp8_fp8 v[64:67], a[178:179], a[10:11], v[64:67]// 0000000056A4: D3F30040 1D0215B2
	buffer_load_dwordx4 a[144:147], v53, s[24:27], 0 offen     // 0000000056AC: E05C1000 80869035
	v_mfma_f32_16x16x32_fp8_fp8 v[64:67], a[180:181], a[12:13], v[64:67]// 0000000056B4: D3F30040 1D0219B4
	v_mfma_f32_16x16x32_fp8_fp8 v[64:67], a[182:183], a[14:15], v[64:67]// 0000000056BC: D3F30040 1D021DB6
	v_mfma_f32_16x16x32_fp8_fp8 v[76:79], a[184:185], a[8:9], v[76:79]// 0000000056C4: D3F3004C 1D3211B8
	v_mfma_f32_16x16x32_fp8_fp8 v[76:79], a[186:187], a[10:11], v[76:79]// 0000000056CC: D3F3004C 1D3215BA
	buffer_load_dwordx4 a[148:151], v53, s[24:27], 0 offen offset:1024// 0000000056D4: E05C1400 80869435
	v_mfma_f32_16x16x32_fp8_fp8 v[76:79], a[188:189], a[12:13], v[76:79]// 0000000056DC: D3F3004C 1D3219BC
	v_mfma_f32_16x16x32_fp8_fp8 v[76:79], a[190:191], a[14:15], v[76:79]// 0000000056E4: D3F3004C 1D321DBE
	v_mfma_f32_16x16x32_fp8_fp8 v[88:91], a[192:193], a[8:9], v[88:91]// 0000000056EC: D3F30058 1D6211C0
	v_mfma_f32_16x16x32_fp8_fp8 v[88:91], a[194:195], a[10:11], v[88:91]// 0000000056F4: D3F30058 1D6215C2
	buffer_load_dwordx4 a[152:155], v54, s[24:27], 0 offen     // 0000000056FC: E05C1000 80869836
	v_mfma_f32_16x16x32_fp8_fp8 v[88:91], a[196:197], a[12:13], v[88:91]// 000000005704: D3F30058 1D6219C4
	v_mfma_f32_16x16x32_fp8_fp8 v[88:91], a[198:199], a[14:15], v[88:91]// 00000000570C: D3F30058 1D621DC6
	v_mfma_f32_16x16x32_fp8_fp8 v[100:103], a[200:201], a[8:9], v[100:103]// 000000005714: D3F30064 1D9211C8
	v_mfma_f32_16x16x32_fp8_fp8 v[100:103], a[202:203], a[10:11], v[100:103]// 00000000571C: D3F30064 1D9215CA
	buffer_load_dwordx4 a[156:159], v54, s[24:27], 0 offen offset:1024// 000000005724: E05C1400 80869C36
	v_mfma_f32_16x16x32_fp8_fp8 v[100:103], a[204:205], a[12:13], v[100:103]// 00000000572C: D3F30064 1D9219CC
	v_mfma_f32_16x16x32_fp8_fp8 v[100:103], a[206:207], a[14:15], v[100:103]// 000000005734: D3F30064 1D921DCE
	v_mfma_f32_16x16x32_fp8_fp8 v[112:115], a[208:209], a[8:9], v[112:115]// 00000000573C: D3F30070 1DC211D0
	v_mfma_f32_16x16x32_fp8_fp8 v[112:115], a[210:211], a[10:11], v[112:115]// 000000005744: D3F30070 1DC215D2
	buffer_load_dwordx4 a[160:163], v55, s[24:27], 0 offen     // 00000000574C: E05C1000 8086A037
	v_mfma_f32_16x16x32_fp8_fp8 v[112:115], a[212:213], a[12:13], v[112:115]// 000000005754: D3F30070 1DC219D4
	v_mfma_f32_16x16x32_fp8_fp8 v[112:115], a[214:215], a[14:15], v[112:115]// 00000000575C: D3F30070 1DC21DD6
	v_mfma_f32_16x16x32_fp8_fp8 v[124:127], a[216:217], a[8:9], v[124:127]// 000000005764: D3F3007C 1DF211D8
	v_mfma_f32_16x16x32_fp8_fp8 v[124:127], a[218:219], a[10:11], v[124:127]// 00000000576C: D3F3007C 1DF215DA
	buffer_load_dwordx4 a[164:167], v55, s[24:27], 0 offen offset:1024// 000000005774: E05C1400 8086A437
	v_mfma_f32_16x16x32_fp8_fp8 v[124:127], a[220:221], a[12:13], v[124:127]// 00000000577C: D3F3007C 1DF219DC
	v_mfma_f32_16x16x32_fp8_fp8 v[124:127], a[222:223], a[14:15], v[124:127]// 000000005784: D3F3007C 1DF21DDE
	v_mfma_f32_16x16x32_fp8_fp8 v[136:139], a[224:225], a[8:9], v[136:139]// 00000000578C: D3F30088 1E2211E0
	v_mfma_f32_16x16x32_fp8_fp8 v[136:139], a[226:227], a[10:11], v[136:139]// 000000005794: D3F30088 1E2215E2
	buffer_load_dwordx4 a[168:171], v56, s[24:27], 0 offen     // 00000000579C: E05C1000 8086A838
	v_mfma_f32_16x16x32_fp8_fp8 v[136:139], a[228:229], a[12:13], v[136:139]// 0000000057A4: D3F30088 1E2219E4
	v_mfma_f32_16x16x32_fp8_fp8 v[136:139], a[230:231], a[14:15], v[136:139]// 0000000057AC: D3F30088 1E221DE6
	v_mfma_f32_16x16x32_fp8_fp8 v[148:151], a[232:233], a[8:9], v[148:151]// 0000000057B4: D3F30094 1E5211E8
	v_mfma_f32_16x16x32_fp8_fp8 v[148:151], a[234:235], a[10:11], v[148:151]// 0000000057BC: D3F30094 1E5215EA
	buffer_load_dwordx4 a[172:175], v56, s[24:27], 0 offen offset:1024// 0000000057C4: E05C1400 8086AC38
	buffer_load_dword v43, s[20:23], 0 offen lds               // 0000000057CC: E0511000 8005002B
	s_add_u32 m0, 0x100, s48                                   // 0000000057D4: 807C30FF 00000100
	v_mfma_f32_16x16x32_fp8_fp8 v[148:151], a[236:237], a[12:13], v[148:151]// 0000000057DC: D3F30094 1E5219EC
	v_mfma_f32_16x16x32_fp8_fp8 v[148:151], a[238:239], a[14:15], v[148:151]// 0000000057E4: D3F30094 1E521DEE
	buffer_load_dword v44, s[20:23], 0 offen lds               // 0000000057EC: E0511000 8005002C
	s_add_u32 m0, 0x200, s48                                   // 0000000057F4: 807C30FF 00000200
	v_mfma_f32_16x16x32_fp8_fp8 v[68:71], a[176:177], a[16:17], v[68:71]// 0000000057FC: D3F30044 1D1221B0
	v_mfma_f32_16x16x32_fp8_fp8 v[68:71], a[178:179], a[18:19], v[68:71]// 000000005804: D3F30044 1D1225B2
	buffer_load_dword v45, s[20:23], 0 offen lds               // 00000000580C: E0511000 8005002D
	s_add_u32 m0, 0x300, s48                                   // 000000005814: 807C30FF 00000300
	v_mfma_f32_16x16x32_fp8_fp8 v[68:71], a[180:181], a[20:21], v[68:71]// 00000000581C: D3F30044 1D1229B4
	v_mfma_f32_16x16x32_fp8_fp8 v[68:71], a[182:183], a[22:23], v[68:71]// 000000005824: D3F30044 1D122DB6
	buffer_load_dword v46, s[20:23], 0 offen lds               // 00000000582C: E0511000 8005002E
	s_add_u32 m0, 0x400, s48                                   // 000000005834: 807C30FF 00000400
	v_mfma_f32_16x16x32_fp8_fp8 v[80:83], a[184:185], a[16:17], v[80:83]// 00000000583C: D3F30050 1D4221B8
	v_mfma_f32_16x16x32_fp8_fp8 v[80:83], a[186:187], a[18:19], v[80:83]// 000000005844: D3F30050 1D4225BA
	buffer_load_dword v47, s[20:23], 0 offen lds               // 00000000584C: E0511000 8005002F
	s_add_u32 m0, 0x500, s48                                   // 000000005854: 807C30FF 00000500
	v_mfma_f32_16x16x32_fp8_fp8 v[80:83], a[188:189], a[20:21], v[80:83]// 00000000585C: D3F30050 1D4229BC
	v_mfma_f32_16x16x32_fp8_fp8 v[80:83], a[190:191], a[22:23], v[80:83]// 000000005864: D3F30050 1D422DBE
	buffer_load_dword v48, s[20:23], 0 offen lds               // 00000000586C: E0511000 80050030
	s_add_u32 m0, 0, s49                                       // 000000005874: 807C3180
	v_mfma_f32_16x16x32_fp8_fp8 v[92:95], a[192:193], a[16:17], v[92:95]// 000000005878: D3F3005C 1D7221C0
	v_mfma_f32_16x16x32_fp8_fp8 v[92:95], a[194:195], a[18:19], v[92:95]// 000000005880: D3F3005C 1D7225C2
	v_mfma_f32_16x16x32_fp8_fp8 v[92:95], a[196:197], a[20:21], v[92:95]// 000000005888: D3F3005C 1D7229C4
	v_mfma_f32_16x16x32_fp8_fp8 v[92:95], a[198:199], a[22:23], v[92:95]// 000000005890: D3F3005C 1D722DC6
	v_mfma_f32_16x16x32_fp8_fp8 v[104:107], a[200:201], a[16:17], v[104:107]// 000000005898: D3F30068 1DA221C8
	v_mfma_f32_16x16x32_fp8_fp8 v[104:107], a[202:203], a[18:19], v[104:107]// 0000000058A0: D3F30068 1DA225CA
	v_mfma_f32_16x16x32_fp8_fp8 v[104:107], a[204:205], a[20:21], v[104:107]// 0000000058A8: D3F30068 1DA229CC
	v_mfma_f32_16x16x32_fp8_fp8 v[104:107], a[206:207], a[22:23], v[104:107]// 0000000058B0: D3F30068 1DA22DCE
	v_mfma_f32_16x16x32_fp8_fp8 v[116:119], a[208:209], a[16:17], v[116:119]// 0000000058B8: D3F30074 1DD221D0
	v_mfma_f32_16x16x32_fp8_fp8 v[116:119], a[210:211], a[18:19], v[116:119]// 0000000058C0: D3F30074 1DD225D2
	v_mfma_f32_16x16x32_fp8_fp8 v[116:119], a[212:213], a[20:21], v[116:119]// 0000000058C8: D3F30074 1DD229D4
	v_mfma_f32_16x16x32_fp8_fp8 v[116:119], a[214:215], a[22:23], v[116:119]// 0000000058D0: D3F30074 1DD22DD6
	v_mfma_f32_16x16x32_fp8_fp8 v[128:131], a[216:217], a[16:17], v[128:131]// 0000000058D8: D3F30080 1E0221D8
	v_mfma_f32_16x16x32_fp8_fp8 v[128:131], a[218:219], a[18:19], v[128:131]// 0000000058E0: D3F30080 1E0225DA
	v_mfma_f32_16x16x32_fp8_fp8 v[128:131], a[220:221], a[20:21], v[128:131]// 0000000058E8: D3F30080 1E0229DC
	v_mfma_f32_16x16x32_fp8_fp8 v[128:131], a[222:223], a[22:23], v[128:131]// 0000000058F0: D3F30080 1E022DDE
	v_mfma_f32_16x16x32_fp8_fp8 v[140:143], a[224:225], a[16:17], v[140:143]// 0000000058F8: D3F3008C 1E3221E0
	v_mfma_f32_16x16x32_fp8_fp8 v[140:143], a[226:227], a[18:19], v[140:143]// 000000005900: D3F3008C 1E3225E2
	v_mfma_f32_16x16x32_fp8_fp8 v[140:143], a[228:229], a[20:21], v[140:143]// 000000005908: D3F3008C 1E3229E4
	v_mfma_f32_16x16x32_fp8_fp8 v[140:143], a[230:231], a[22:23], v[140:143]// 000000005910: D3F3008C 1E322DE6
	v_mfma_f32_16x16x32_fp8_fp8 v[152:155], a[232:233], a[16:17], v[152:155]// 000000005918: D3F30098 1E6221E8
	v_mfma_f32_16x16x32_fp8_fp8 v[152:155], a[234:235], a[18:19], v[152:155]// 000000005920: D3F30098 1E6225EA
	v_mfma_f32_16x16x32_fp8_fp8 v[152:155], a[236:237], a[20:21], v[152:155]// 000000005928: D3F30098 1E6229EC
	v_mfma_f32_16x16x32_fp8_fp8 v[152:155], a[238:239], a[22:23], v[152:155]// 000000005930: D3F30098 1E622DEE
	s_waitcnt vmcnt(22)                                        // 000000005938: BF8C4F76
	s_barrier                                                  // 00000000593C: BF8A0000
	v_mfma_f32_16x16x32_fp8_fp8 v[156:159], a[48:49], a[0:1], v[156:159]// 000000005940: D3F3009C 1E720130
	v_mfma_f32_16x16x32_fp8_fp8 v[156:159], a[50:51], a[2:3], v[156:159]// 000000005948: D3F3009C 1E720532
	buffer_load_dwordx4 a[176:179], v49, s[84:87], 0 offen     // 000000005950: E05C1000 8095B031
	v_mfma_f32_16x16x32_fp8_fp8 v[156:159], a[52:53], a[4:5], v[156:159]// 000000005958: D3F3009C 1E720934
	v_mfma_f32_16x16x32_fp8_fp8 v[156:159], a[54:55], a[6:7], v[156:159]// 000000005960: D3F3009C 1E720D36
	ds_read_b128 a[24:27], v2 offset:12544                     // 000000005968: DBFE3100 18000002
	ds_read_b128 a[28:31], v2 offset:12608                     // 000000005970: DBFE3140 1C000002
	v_mfma_f32_16x16x32_fp8_fp8 v[168:171], a[56:57], a[0:1], v[168:171]// 000000005978: D3F300A8 1EA20138
	v_mfma_f32_16x16x32_fp8_fp8 v[168:171], a[58:59], a[2:3], v[168:171]// 000000005980: D3F300A8 1EA2053A
	buffer_load_dwordx4 a[180:183], v49, s[84:87], 0 offen offset:1024// 000000005988: E05C1400 8095B431
	v_mfma_f32_16x16x32_fp8_fp8 v[168:171], a[60:61], a[4:5], v[168:171]// 000000005990: D3F300A8 1EA2093C
	v_mfma_f32_16x16x32_fp8_fp8 v[168:171], a[62:63], a[6:7], v[168:171]// 000000005998: D3F300A8 1EA20D3E
	ds_read_b128 a[32:35], v2 offset:13056                     // 0000000059A0: DBFE3300 20000002
	ds_read_b128 a[36:39], v2 offset:13120                     // 0000000059A8: DBFE3340 24000002
	v_mfma_f32_16x16x32_fp8_fp8 v[180:183], a[64:65], a[0:1], v[180:183]// 0000000059B0: D3F300B4 1ED20140
	v_mfma_f32_16x16x32_fp8_fp8 v[180:183], a[66:67], a[2:3], v[180:183]// 0000000059B8: D3F300B4 1ED20542
	buffer_load_dwordx4 a[184:187], v50, s[84:87], 0 offen     // 0000000059C0: E05C1000 8095B832
	v_mfma_f32_16x16x32_fp8_fp8 v[180:183], a[68:69], a[4:5], v[180:183]// 0000000059C8: D3F300B4 1ED20944
	v_mfma_f32_16x16x32_fp8_fp8 v[180:183], a[70:71], a[6:7], v[180:183]// 0000000059D0: D3F300B4 1ED20D46
	ds_read_b128 a[40:43], v2 offset:13568                     // 0000000059D8: DBFE3500 28000002
	ds_read_b128 a[44:47], v2 offset:13632                     // 0000000059E0: DBFE3540 2C000002
	v_mfma_f32_16x16x32_fp8_fp8 v[192:195], a[72:73], a[0:1], v[192:195]// 0000000059E8: D3F300C0 1F020148
	v_mfma_f32_16x16x32_fp8_fp8 v[192:195], a[74:75], a[2:3], v[192:195]// 0000000059F0: D3F300C0 1F02054A
	buffer_load_dwordx4 a[188:191], v50, s[84:87], 0 offen offset:1024// 0000000059F8: E05C1400 8095BC32
	v_mfma_f32_16x16x32_fp8_fp8 v[192:195], a[76:77], a[4:5], v[192:195]// 000000005A00: D3F300C0 1F02094C
	v_mfma_f32_16x16x32_fp8_fp8 v[192:195], a[78:79], a[6:7], v[192:195]// 000000005A08: D3F300C0 1F020D4E
	v_mfma_f32_16x16x32_fp8_fp8 v[204:207], a[80:81], a[0:1], v[204:207]// 000000005A10: D3F300CC 1F320150
	v_mfma_f32_16x16x32_fp8_fp8 v[204:207], a[82:83], a[2:3], v[204:207]// 000000005A18: D3F300CC 1F320552
	buffer_load_dwordx4 a[192:195], v51, s[84:87], 0 offen     // 000000005A20: E05C1000 8095C033
	v_mfma_f32_16x16x32_fp8_fp8 v[204:207], a[84:85], a[4:5], v[204:207]// 000000005A28: D3F300CC 1F320954
	v_mfma_f32_16x16x32_fp8_fp8 v[204:207], a[86:87], a[6:7], v[204:207]// 000000005A30: D3F300CC 1F320D56
	v_mfma_f32_16x16x32_fp8_fp8 v[216:219], a[88:89], a[0:1], v[216:219]// 000000005A38: D3F300D8 1F620158
	v_mfma_f32_16x16x32_fp8_fp8 v[216:219], a[90:91], a[2:3], v[216:219]// 000000005A40: D3F300D8 1F62055A
	buffer_load_dwordx4 a[196:199], v51, s[84:87], 0 offen offset:1024// 000000005A48: E05C1400 8095C433
	v_mfma_f32_16x16x32_fp8_fp8 v[216:219], a[92:93], a[4:5], v[216:219]// 000000005A50: D3F300D8 1F62095C
	v_mfma_f32_16x16x32_fp8_fp8 v[216:219], a[94:95], a[6:7], v[216:219]// 000000005A58: D3F300D8 1F620D5E
	v_mfma_f32_16x16x32_fp8_fp8 v[228:231], a[96:97], a[0:1], v[228:231]// 000000005A60: D3F300E4 1F920160
	v_mfma_f32_16x16x32_fp8_fp8 v[228:231], a[98:99], a[2:3], v[228:231]// 000000005A68: D3F300E4 1F920562
	buffer_load_dwordx4 a[200:203], v52, s[84:87], 0 offen     // 000000005A70: E05C1000 8095C834
	v_mfma_f32_16x16x32_fp8_fp8 v[228:231], a[100:101], a[4:5], v[228:231]// 000000005A78: D3F300E4 1F920964
	v_mfma_f32_16x16x32_fp8_fp8 v[228:231], a[102:103], a[6:7], v[228:231]// 000000005A80: D3F300E4 1F920D66
	v_mfma_f32_16x16x32_fp8_fp8 v[240:243], a[104:105], a[0:1], v[240:243]// 000000005A88: D3F300F0 1FC20168
	v_mfma_f32_16x16x32_fp8_fp8 v[240:243], a[106:107], a[2:3], v[240:243]// 000000005A90: D3F300F0 1FC2056A
	buffer_load_dwordx4 a[204:207], v52, s[84:87], 0 offen offset:1024// 000000005A98: E05C1400 8095CC34
	v_mfma_f32_16x16x32_fp8_fp8 v[240:243], a[108:109], a[4:5], v[240:243]// 000000005AA0: D3F300F0 1FC2096C
	v_mfma_f32_16x16x32_fp8_fp8 v[240:243], a[110:111], a[6:7], v[240:243]// 000000005AA8: D3F300F0 1FC20D6E
	v_mfma_f32_16x16x32_fp8_fp8 v[160:163], a[48:49], a[8:9], v[160:163]// 000000005AB0: D3F300A0 1E821130
	v_mfma_f32_16x16x32_fp8_fp8 v[160:163], a[50:51], a[10:11], v[160:163]// 000000005AB8: D3F300A0 1E821532
	buffer_load_dwordx4 a[208:211], v53, s[84:87], 0 offen     // 000000005AC0: E05C1000 8095D035
	v_mfma_f32_16x16x32_fp8_fp8 v[160:163], a[52:53], a[12:13], v[160:163]// 000000005AC8: D3F300A0 1E821934
	v_mfma_f32_16x16x32_fp8_fp8 v[160:163], a[54:55], a[14:15], v[160:163]// 000000005AD0: D3F300A0 1E821D36
	v_mfma_f32_16x16x32_fp8_fp8 v[172:175], a[56:57], a[8:9], v[172:175]// 000000005AD8: D3F300AC 1EB21138
	v_mfma_f32_16x16x32_fp8_fp8 v[172:175], a[58:59], a[10:11], v[172:175]// 000000005AE0: D3F300AC 1EB2153A
	buffer_load_dwordx4 a[212:215], v53, s[84:87], 0 offen offset:1024// 000000005AE8: E05C1400 8095D435
	v_mfma_f32_16x16x32_fp8_fp8 v[172:175], a[60:61], a[12:13], v[172:175]// 000000005AF0: D3F300AC 1EB2193C
	v_mfma_f32_16x16x32_fp8_fp8 v[172:175], a[62:63], a[14:15], v[172:175]// 000000005AF8: D3F300AC 1EB21D3E
	v_mfma_f32_16x16x32_fp8_fp8 v[184:187], a[64:65], a[8:9], v[184:187]// 000000005B00: D3F300B8 1EE21140
	v_mfma_f32_16x16x32_fp8_fp8 v[184:187], a[66:67], a[10:11], v[184:187]// 000000005B08: D3F300B8 1EE21542
	buffer_load_dwordx4 a[216:219], v54, s[84:87], 0 offen     // 000000005B10: E05C1000 8095D836
	v_mfma_f32_16x16x32_fp8_fp8 v[184:187], a[68:69], a[12:13], v[184:187]// 000000005B18: D3F300B8 1EE21944
	v_mfma_f32_16x16x32_fp8_fp8 v[184:187], a[70:71], a[14:15], v[184:187]// 000000005B20: D3F300B8 1EE21D46
	v_mfma_f32_16x16x32_fp8_fp8 v[196:199], a[72:73], a[8:9], v[196:199]// 000000005B28: D3F300C4 1F121148
	v_mfma_f32_16x16x32_fp8_fp8 v[196:199], a[74:75], a[10:11], v[196:199]// 000000005B30: D3F300C4 1F12154A
	buffer_load_dwordx4 a[220:223], v54, s[84:87], 0 offen offset:1024// 000000005B38: E05C1400 8095DC36
	v_mfma_f32_16x16x32_fp8_fp8 v[196:199], a[76:77], a[12:13], v[196:199]// 000000005B40: D3F300C4 1F12194C
	v_mfma_f32_16x16x32_fp8_fp8 v[196:199], a[78:79], a[14:15], v[196:199]// 000000005B48: D3F300C4 1F121D4E
	v_mfma_f32_16x16x32_fp8_fp8 v[208:211], a[80:81], a[8:9], v[208:211]// 000000005B50: D3F300D0 1F421150
	v_mfma_f32_16x16x32_fp8_fp8 v[208:211], a[82:83], a[10:11], v[208:211]// 000000005B58: D3F300D0 1F421552
	buffer_load_dwordx4 a[224:227], v55, s[84:87], 0 offen     // 000000005B60: E05C1000 8095E037
	v_mfma_f32_16x16x32_fp8_fp8 v[208:211], a[84:85], a[12:13], v[208:211]// 000000005B68: D3F300D0 1F421954
	v_mfma_f32_16x16x32_fp8_fp8 v[208:211], a[86:87], a[14:15], v[208:211]// 000000005B70: D3F300D0 1F421D56
	v_mfma_f32_16x16x32_fp8_fp8 v[220:223], a[88:89], a[8:9], v[220:223]// 000000005B78: D3F300DC 1F721158
	v_mfma_f32_16x16x32_fp8_fp8 v[220:223], a[90:91], a[10:11], v[220:223]// 000000005B80: D3F300DC 1F72155A
	buffer_load_dwordx4 a[228:231], v55, s[84:87], 0 offen offset:1024// 000000005B88: E05C1400 8095E437
	v_mfma_f32_16x16x32_fp8_fp8 v[220:223], a[92:93], a[12:13], v[220:223]// 000000005B90: D3F300DC 1F72195C
	v_mfma_f32_16x16x32_fp8_fp8 v[220:223], a[94:95], a[14:15], v[220:223]// 000000005B98: D3F300DC 1F721D5E
	v_mfma_f32_16x16x32_fp8_fp8 v[232:235], a[96:97], a[8:9], v[232:235]// 000000005BA0: D3F300E8 1FA21160
	v_mfma_f32_16x16x32_fp8_fp8 v[232:235], a[98:99], a[10:11], v[232:235]// 000000005BA8: D3F300E8 1FA21562
	buffer_load_dwordx4 a[232:235], v56, s[84:87], 0 offen     // 000000005BB0: E05C1000 8095E838
	v_mfma_f32_16x16x32_fp8_fp8 v[232:235], a[100:101], a[12:13], v[232:235]// 000000005BB8: D3F300E8 1FA21964
	v_mfma_f32_16x16x32_fp8_fp8 v[232:235], a[102:103], a[14:15], v[232:235]// 000000005BC0: D3F300E8 1FA21D66
	v_mfma_f32_16x16x32_fp8_fp8 v[244:247], a[104:105], a[8:9], v[244:247]// 000000005BC8: D3F300F4 1FD21168
	v_mfma_f32_16x16x32_fp8_fp8 v[244:247], a[106:107], a[10:11], v[244:247]// 000000005BD0: D3F300F4 1FD2156A
	buffer_load_dwordx4 a[236:239], v56, s[84:87], 0 offen offset:1024// 000000005BD8: E05C1400 8095EC38
	v_mfma_f32_16x16x32_fp8_fp8 v[244:247], a[108:109], a[12:13], v[244:247]// 000000005BE0: D3F300F4 1FD2196C
	v_mfma_f32_16x16x32_fp8_fp8 v[244:247], a[110:111], a[14:15], v[244:247]// 000000005BE8: D3F300F4 1FD21D6E
	v_mfma_f32_16x16x32_fp8_fp8 v[164:167], a[48:49], a[16:17], v[164:167]// 000000005BF0: D3F300A4 1E922130
	v_mfma_f32_16x16x32_fp8_fp8 v[164:167], a[50:51], a[18:19], v[164:167]// 000000005BF8: D3F300A4 1E922532
	v_mfma_f32_16x16x32_fp8_fp8 v[164:167], a[52:53], a[20:21], v[164:167]// 000000005C00: D3F300A4 1E922934
	v_mfma_f32_16x16x32_fp8_fp8 v[164:167], a[54:55], a[22:23], v[164:167]// 000000005C08: D3F300A4 1E922D36
	v_mfma_f32_16x16x32_fp8_fp8 v[176:179], a[56:57], a[16:17], v[176:179]// 000000005C10: D3F300B0 1EC22138
	v_mfma_f32_16x16x32_fp8_fp8 v[176:179], a[58:59], a[18:19], v[176:179]// 000000005C18: D3F300B0 1EC2253A
	v_mfma_f32_16x16x32_fp8_fp8 v[176:179], a[60:61], a[20:21], v[176:179]// 000000005C20: D3F300B0 1EC2293C
	v_mfma_f32_16x16x32_fp8_fp8 v[176:179], a[62:63], a[22:23], v[176:179]// 000000005C28: D3F300B0 1EC22D3E
	v_mfma_f32_16x16x32_fp8_fp8 v[188:191], a[64:65], a[16:17], v[188:191]// 000000005C30: D3F300BC 1EF22140
	v_mfma_f32_16x16x32_fp8_fp8 v[188:191], a[66:67], a[18:19], v[188:191]// 000000005C38: D3F300BC 1EF22542
	v_mfma_f32_16x16x32_fp8_fp8 v[188:191], a[68:69], a[20:21], v[188:191]// 000000005C40: D3F300BC 1EF22944
	v_mfma_f32_16x16x32_fp8_fp8 v[188:191], a[70:71], a[22:23], v[188:191]// 000000005C48: D3F300BC 1EF22D46
	v_mfma_f32_16x16x32_fp8_fp8 v[200:203], a[72:73], a[16:17], v[200:203]// 000000005C50: D3F300C8 1F222148
	v_mfma_f32_16x16x32_fp8_fp8 v[200:203], a[74:75], a[18:19], v[200:203]// 000000005C58: D3F300C8 1F22254A
	v_mfma_f32_16x16x32_fp8_fp8 v[200:203], a[76:77], a[20:21], v[200:203]// 000000005C60: D3F300C8 1F22294C
	v_mfma_f32_16x16x32_fp8_fp8 v[200:203], a[78:79], a[22:23], v[200:203]// 000000005C68: D3F300C8 1F222D4E
	v_mfma_f32_16x16x32_fp8_fp8 v[212:215], a[80:81], a[16:17], v[212:215]// 000000005C70: D3F300D4 1F522150
	v_mfma_f32_16x16x32_fp8_fp8 v[212:215], a[82:83], a[18:19], v[212:215]// 000000005C78: D3F300D4 1F522552
	v_mfma_f32_16x16x32_fp8_fp8 v[212:215], a[84:85], a[20:21], v[212:215]// 000000005C80: D3F300D4 1F522954
	v_mfma_f32_16x16x32_fp8_fp8 v[212:215], a[86:87], a[22:23], v[212:215]// 000000005C88: D3F300D4 1F522D56
	v_mfma_f32_16x16x32_fp8_fp8 v[224:227], a[88:89], a[16:17], v[224:227]// 000000005C90: D3F300E0 1F822158
	v_mfma_f32_16x16x32_fp8_fp8 v[224:227], a[90:91], a[18:19], v[224:227]// 000000005C98: D3F300E0 1F82255A
	v_mfma_f32_16x16x32_fp8_fp8 v[224:227], a[92:93], a[20:21], v[224:227]// 000000005CA0: D3F300E0 1F82295C
	v_mfma_f32_16x16x32_fp8_fp8 v[224:227], a[94:95], a[22:23], v[224:227]// 000000005CA8: D3F300E0 1F822D5E
	v_mfma_f32_16x16x32_fp8_fp8 v[236:239], a[96:97], a[16:17], v[236:239]// 000000005CB0: D3F300EC 1FB22160
	s_add_u32 s60, 0x180, s80                                  // 000000005CB8: 803C50FF 00000180
	s_cmp_lt_u32 s60, s81                                      // 000000005CC0: BF0A513C
	s_cselect_b32 s57, s57, 0                                  // 000000005CC4: 85398039
	v_mfma_f32_16x16x32_fp8_fp8 v[236:239], a[98:99], a[18:19], v[236:239]// 000000005CC8: D3F300EC 1FB22562
	s_add_u32 s60, 0x100, s80                                  // 000000005CD0: 803C50FF 00000100
	s_cmp_lt_u32 s60, s81                                      // 000000005CD8: BF0A513C
	s_cselect_b32 s58, s58, 0                                  // 000000005CDC: 853A803A
	v_mfma_f32_16x16x32_fp8_fp8 v[236:239], a[100:101], a[20:21], v[236:239]// 000000005CE0: D3F300EC 1FB22964
	s_add_u32 s60, 0x100, s80                                  // 000000005CE8: 803C50FF 00000100
	s_cmp_lt_u32 s60, s81                                      // 000000005CF0: BF0A513C
	s_cselect_b32 s83, s83, 0                                  // 000000005CF4: 85538053
	v_mfma_f32_16x16x32_fp8_fp8 v[236:239], a[102:103], a[22:23], v[236:239]// 000000005CF8: D3F300EC 1FB22D66
	s_add_u32 s24, s58, s24                                    // 000000005D00: 8018183A
	s_addc_u32 s25, 0, s25                                     // 000000005D04: 82191980
	v_mfma_f32_16x16x32_fp8_fp8 v[248:251], a[104:105], a[16:17], v[248:251]// 000000005D08: D3F300F8 1FE22168
	s_add_u32 s20, s57, s20                                    // 000000005D10: 80141439
	s_addc_u32 s21, 0, s21                                     // 000000005D14: 82151580
	v_mfma_f32_16x16x32_fp8_fp8 v[248:251], a[106:107], a[18:19], v[248:251]// 000000005D18: D3F300F8 1FE2256A
	s_add_u32 s84, s83, s84                                    // 000000005D20: 80545453
	s_addc_u32 s85, 0, s85                                     // 000000005D24: 82555580
	v_mfma_f32_16x16x32_fp8_fp8 v[248:251], a[108:109], a[20:21], v[248:251]// 000000005D28: D3F300F8 1FE2296C
	v_mfma_f32_16x16x32_fp8_fp8 v[248:251], a[110:111], a[22:23], v[248:251]// 000000005D30: D3F300F8 1FE22D6E
	s_addk_i32 s80, 0x80                                       // 000000005D38: B7500080
	s_cmp_lt_i32 s80, s81                                      // 000000005D3C: BF045150
	s_cbranch_scc0 label_0ECD                                  // 000000005D40: BF8401FC
	s_waitcnt vmcnt(22) lgkmcnt(0)                             // 000000005D44: BF8C4076
	v_mfma_f32_16x16x32_fp8_fp8 v[60:63], a[112:113], a[24:25], v[60:63]// 000000005D48: D3F3003C 1CF23170
	v_mfma_f32_16x16x32_fp8_fp8 v[60:63], a[114:115], a[26:27], v[60:63]// 000000005D50: D3F3003C 1CF23572
	buffer_load_dwordx4 a[48:51], v49, s[24:27], 0 offen       // 000000005D58: E05C1000 80863031
	v_mfma_f32_16x16x32_fp8_fp8 v[60:63], a[116:117], a[28:29], v[60:63]// 000000005D60: D3F3003C 1CF23974
	v_mfma_f32_16x16x32_fp8_fp8 v[60:63], a[118:119], a[30:31], v[60:63]// 000000005D68: D3F3003C 1CF23D76
	v_mfma_f32_16x16x32_fp8_fp8 v[72:75], a[120:121], a[24:25], v[72:75]// 000000005D70: D3F30048 1D223178
	v_mfma_f32_16x16x32_fp8_fp8 v[72:75], a[122:123], a[26:27], v[72:75]// 000000005D78: D3F30048 1D22357A
	buffer_load_dwordx4 a[52:55], v49, s[24:27], 0 offen offset:1024// 000000005D80: E05C1400 80863431
	v_mfma_f32_16x16x32_fp8_fp8 v[72:75], a[124:125], a[28:29], v[72:75]// 000000005D88: D3F30048 1D22397C
	v_mfma_f32_16x16x32_fp8_fp8 v[72:75], a[126:127], a[30:31], v[72:75]// 000000005D90: D3F30048 1D223D7E
	v_mfma_f32_16x16x32_fp8_fp8 v[84:87], a[128:129], a[24:25], v[84:87]// 000000005D98: D3F30054 1D523180
	v_mfma_f32_16x16x32_fp8_fp8 v[84:87], a[130:131], a[26:27], v[84:87]// 000000005DA0: D3F30054 1D523582
	buffer_load_dwordx4 a[56:59], v50, s[24:27], 0 offen       // 000000005DA8: E05C1000 80863832
	v_mfma_f32_16x16x32_fp8_fp8 v[84:87], a[132:133], a[28:29], v[84:87]// 000000005DB0: D3F30054 1D523984
	v_mfma_f32_16x16x32_fp8_fp8 v[84:87], a[134:135], a[30:31], v[84:87]// 000000005DB8: D3F30054 1D523D86
	v_mfma_f32_16x16x32_fp8_fp8 v[96:99], a[136:137], a[24:25], v[96:99]// 000000005DC0: D3F30060 1D823188
	v_mfma_f32_16x16x32_fp8_fp8 v[96:99], a[138:139], a[26:27], v[96:99]// 000000005DC8: D3F30060 1D82358A
	buffer_load_dwordx4 a[60:63], v50, s[24:27], 0 offen offset:1024// 000000005DD0: E05C1400 80863C32
	v_mfma_f32_16x16x32_fp8_fp8 v[96:99], a[140:141], a[28:29], v[96:99]// 000000005DD8: D3F30060 1D82398C
	v_mfma_f32_16x16x32_fp8_fp8 v[96:99], a[142:143], a[30:31], v[96:99]// 000000005DE0: D3F30060 1D823D8E
	v_mfma_f32_16x16x32_fp8_fp8 v[108:111], a[144:145], a[24:25], v[108:111]// 000000005DE8: D3F3006C 1DB23190
	v_mfma_f32_16x16x32_fp8_fp8 v[108:111], a[146:147], a[26:27], v[108:111]// 000000005DF0: D3F3006C 1DB23592
	buffer_load_dwordx4 a[64:67], v51, s[24:27], 0 offen       // 000000005DF8: E05C1000 80864033
	v_mfma_f32_16x16x32_fp8_fp8 v[108:111], a[148:149], a[28:29], v[108:111]// 000000005E00: D3F3006C 1DB23994
	v_mfma_f32_16x16x32_fp8_fp8 v[108:111], a[150:151], a[30:31], v[108:111]// 000000005E08: D3F3006C 1DB23D96
	v_mfma_f32_16x16x32_fp8_fp8 v[120:123], a[152:153], a[24:25], v[120:123]// 000000005E10: D3F30078 1DE23198
	v_mfma_f32_16x16x32_fp8_fp8 v[120:123], a[154:155], a[26:27], v[120:123]// 000000005E18: D3F30078 1DE2359A
	buffer_load_dwordx4 a[68:71], v51, s[24:27], 0 offen offset:1024// 000000005E20: E05C1400 80864433
	v_mfma_f32_16x16x32_fp8_fp8 v[120:123], a[156:157], a[28:29], v[120:123]// 000000005E28: D3F30078 1DE2399C
	v_mfma_f32_16x16x32_fp8_fp8 v[120:123], a[158:159], a[30:31], v[120:123]// 000000005E30: D3F30078 1DE23D9E
	v_mfma_f32_16x16x32_fp8_fp8 v[132:135], a[160:161], a[24:25], v[132:135]// 000000005E38: D3F30084 1E1231A0
	v_mfma_f32_16x16x32_fp8_fp8 v[132:135], a[162:163], a[26:27], v[132:135]// 000000005E40: D3F30084 1E1235A2
	buffer_load_dwordx4 a[72:75], v52, s[24:27], 0 offen       // 000000005E48: E05C1000 80864834
	v_mfma_f32_16x16x32_fp8_fp8 v[132:135], a[164:165], a[28:29], v[132:135]// 000000005E50: D3F30084 1E1239A4
	v_mfma_f32_16x16x32_fp8_fp8 v[132:135], a[166:167], a[30:31], v[132:135]// 000000005E58: D3F30084 1E123DA6
	v_mfma_f32_16x16x32_fp8_fp8 v[144:147], a[168:169], a[24:25], v[144:147]// 000000005E60: D3F30090 1E4231A8
	v_mfma_f32_16x16x32_fp8_fp8 v[144:147], a[170:171], a[26:27], v[144:147]// 000000005E68: D3F30090 1E4235AA
	buffer_load_dwordx4 a[76:79], v52, s[24:27], 0 offen offset:1024// 000000005E70: E05C1400 80864C34
	v_mfma_f32_16x16x32_fp8_fp8 v[144:147], a[172:173], a[28:29], v[144:147]// 000000005E78: D3F30090 1E4239AC
	v_mfma_f32_16x16x32_fp8_fp8 v[144:147], a[174:175], a[30:31], v[144:147]// 000000005E80: D3F30090 1E423DAE
	v_mfma_f32_16x16x32_fp8_fp8 v[64:67], a[112:113], a[32:33], v[64:67]// 000000005E88: D3F30040 1D024170
	v_mfma_f32_16x16x32_fp8_fp8 v[64:67], a[114:115], a[34:35], v[64:67]// 000000005E90: D3F30040 1D024572
	buffer_load_dwordx4 a[80:83], v53, s[24:27], 0 offen       // 000000005E98: E05C1000 80865035
	v_mfma_f32_16x16x32_fp8_fp8 v[64:67], a[116:117], a[36:37], v[64:67]// 000000005EA0: D3F30040 1D024974
	v_mfma_f32_16x16x32_fp8_fp8 v[64:67], a[118:119], a[38:39], v[64:67]// 000000005EA8: D3F30040 1D024D76
	v_mfma_f32_16x16x32_fp8_fp8 v[76:79], a[120:121], a[32:33], v[76:79]// 000000005EB0: D3F3004C 1D324178
	v_mfma_f32_16x16x32_fp8_fp8 v[76:79], a[122:123], a[34:35], v[76:79]// 000000005EB8: D3F3004C 1D32457A
	buffer_load_dwordx4 a[84:87], v53, s[24:27], 0 offen offset:1024// 000000005EC0: E05C1400 80865435
	v_mfma_f32_16x16x32_fp8_fp8 v[76:79], a[124:125], a[36:37], v[76:79]// 000000005EC8: D3F3004C 1D32497C
	v_mfma_f32_16x16x32_fp8_fp8 v[76:79], a[126:127], a[38:39], v[76:79]// 000000005ED0: D3F3004C 1D324D7E
	v_mfma_f32_16x16x32_fp8_fp8 v[88:91], a[128:129], a[32:33], v[88:91]// 000000005ED8: D3F30058 1D624180
	v_mfma_f32_16x16x32_fp8_fp8 v[88:91], a[130:131], a[34:35], v[88:91]// 000000005EE0: D3F30058 1D624582
	buffer_load_dwordx4 a[88:91], v54, s[24:27], 0 offen       // 000000005EE8: E05C1000 80865836
	v_mfma_f32_16x16x32_fp8_fp8 v[88:91], a[132:133], a[36:37], v[88:91]// 000000005EF0: D3F30058 1D624984
	v_mfma_f32_16x16x32_fp8_fp8 v[88:91], a[134:135], a[38:39], v[88:91]// 000000005EF8: D3F30058 1D624D86
	v_mfma_f32_16x16x32_fp8_fp8 v[100:103], a[136:137], a[32:33], v[100:103]// 000000005F00: D3F30064 1D924188
	v_mfma_f32_16x16x32_fp8_fp8 v[100:103], a[138:139], a[34:35], v[100:103]// 000000005F08: D3F30064 1D92458A
	buffer_load_dwordx4 a[92:95], v54, s[24:27], 0 offen offset:1024// 000000005F10: E05C1400 80865C36
	v_mfma_f32_16x16x32_fp8_fp8 v[100:103], a[140:141], a[36:37], v[100:103]// 000000005F18: D3F30064 1D92498C
	v_mfma_f32_16x16x32_fp8_fp8 v[100:103], a[142:143], a[38:39], v[100:103]// 000000005F20: D3F30064 1D924D8E
	v_mfma_f32_16x16x32_fp8_fp8 v[112:115], a[144:145], a[32:33], v[112:115]// 000000005F28: D3F30070 1DC24190
	v_mfma_f32_16x16x32_fp8_fp8 v[112:115], a[146:147], a[34:35], v[112:115]// 000000005F30: D3F30070 1DC24592
	buffer_load_dwordx4 a[96:99], v55, s[24:27], 0 offen       // 000000005F38: E05C1000 80866037
	v_mfma_f32_16x16x32_fp8_fp8 v[112:115], a[148:149], a[36:37], v[112:115]// 000000005F40: D3F30070 1DC24994
	v_mfma_f32_16x16x32_fp8_fp8 v[112:115], a[150:151], a[38:39], v[112:115]// 000000005F48: D3F30070 1DC24D96
	v_mfma_f32_16x16x32_fp8_fp8 v[124:127], a[152:153], a[32:33], v[124:127]// 000000005F50: D3F3007C 1DF24198
	v_mfma_f32_16x16x32_fp8_fp8 v[124:127], a[154:155], a[34:35], v[124:127]// 000000005F58: D3F3007C 1DF2459A
	buffer_load_dwordx4 a[100:103], v55, s[24:27], 0 offen offset:1024// 000000005F60: E05C1400 80866437
	v_mfma_f32_16x16x32_fp8_fp8 v[124:127], a[156:157], a[36:37], v[124:127]// 000000005F68: D3F3007C 1DF2499C
	v_mfma_f32_16x16x32_fp8_fp8 v[124:127], a[158:159], a[38:39], v[124:127]// 000000005F70: D3F3007C 1DF24D9E
	v_mfma_f32_16x16x32_fp8_fp8 v[136:139], a[160:161], a[32:33], v[136:139]// 000000005F78: D3F30088 1E2241A0
	v_mfma_f32_16x16x32_fp8_fp8 v[136:139], a[162:163], a[34:35], v[136:139]// 000000005F80: D3F30088 1E2245A2
	buffer_load_dwordx4 a[104:107], v56, s[24:27], 0 offen     // 000000005F88: E05C1000 80866838
	v_mfma_f32_16x16x32_fp8_fp8 v[136:139], a[164:165], a[36:37], v[136:139]// 000000005F90: D3F30088 1E2249A4
	v_mfma_f32_16x16x32_fp8_fp8 v[136:139], a[166:167], a[38:39], v[136:139]// 000000005F98: D3F30088 1E224DA6
	v_mfma_f32_16x16x32_fp8_fp8 v[148:151], a[168:169], a[32:33], v[148:151]// 000000005FA0: D3F30094 1E5241A8
	v_mfma_f32_16x16x32_fp8_fp8 v[148:151], a[170:171], a[34:35], v[148:151]// 000000005FA8: D3F30094 1E5245AA
	buffer_load_dwordx4 a[108:111], v56, s[24:27], 0 offen offset:1024// 000000005FB0: E05C1400 80866C38
	buffer_load_dword v43, s[20:23], 0 offen lds               // 000000005FB8: E0511000 8005002B
	s_add_u32 m0, 0x100, s49                                   // 000000005FC0: 807C31FF 00000100
	v_mfma_f32_16x16x32_fp8_fp8 v[148:151], a[172:173], a[36:37], v[148:151]// 000000005FC8: D3F30094 1E5249AC
	v_mfma_f32_16x16x32_fp8_fp8 v[148:151], a[174:175], a[38:39], v[148:151]// 000000005FD0: D3F30094 1E524DAE
	buffer_load_dword v44, s[20:23], 0 offen lds               // 000000005FD8: E0511000 8005002C
	s_add_u32 m0, 0x200, s49                                   // 000000005FE0: 807C31FF 00000200
	v_mfma_f32_16x16x32_fp8_fp8 v[68:71], a[112:113], a[40:41], v[68:71]// 000000005FE8: D3F30044 1D125170
	v_mfma_f32_16x16x32_fp8_fp8 v[68:71], a[114:115], a[42:43], v[68:71]// 000000005FF0: D3F30044 1D125572
	buffer_load_dword v45, s[20:23], 0 offen lds               // 000000005FF8: E0511000 8005002D
	s_add_u32 m0, 0x300, s49                                   // 000000006000: 807C31FF 00000300
	v_mfma_f32_16x16x32_fp8_fp8 v[68:71], a[116:117], a[44:45], v[68:71]// 000000006008: D3F30044 1D125974
	v_mfma_f32_16x16x32_fp8_fp8 v[68:71], a[118:119], a[46:47], v[68:71]// 000000006010: D3F30044 1D125D76
	buffer_load_dword v46, s[20:23], 0 offen lds               // 000000006018: E0511000 8005002E
	s_add_u32 m0, 0x400, s49                                   // 000000006020: 807C31FF 00000400
	v_mfma_f32_16x16x32_fp8_fp8 v[80:83], a[120:121], a[40:41], v[80:83]// 000000006028: D3F30050 1D425178
	v_mfma_f32_16x16x32_fp8_fp8 v[80:83], a[122:123], a[42:43], v[80:83]// 000000006030: D3F30050 1D42557A
	buffer_load_dword v47, s[20:23], 0 offen lds               // 000000006038: E0511000 8005002F
	s_add_u32 m0, 0x500, s49                                   // 000000006040: 807C31FF 00000500
	v_mfma_f32_16x16x32_fp8_fp8 v[80:83], a[124:125], a[44:45], v[80:83]// 000000006048: D3F30050 1D42597C
	v_mfma_f32_16x16x32_fp8_fp8 v[80:83], a[126:127], a[46:47], v[80:83]// 000000006050: D3F30050 1D425D7E
	buffer_load_dword v48, s[20:23], 0 offen lds               // 000000006058: E0511000 80050030
	s_add_u32 m0, 0, s50                                       // 000000006060: 807C3280
	v_mfma_f32_16x16x32_fp8_fp8 v[92:95], a[128:129], a[40:41], v[92:95]// 000000006064: D3F3005C 1D725180
	v_mfma_f32_16x16x32_fp8_fp8 v[92:95], a[130:131], a[42:43], v[92:95]// 00000000606C: D3F3005C 1D725582
	v_mfma_f32_16x16x32_fp8_fp8 v[92:95], a[132:133], a[44:45], v[92:95]// 000000006074: D3F3005C 1D725984
	v_mfma_f32_16x16x32_fp8_fp8 v[92:95], a[134:135], a[46:47], v[92:95]// 00000000607C: D3F3005C 1D725D86
	v_mfma_f32_16x16x32_fp8_fp8 v[104:107], a[136:137], a[40:41], v[104:107]// 000000006084: D3F30068 1DA25188
	v_mfma_f32_16x16x32_fp8_fp8 v[104:107], a[138:139], a[42:43], v[104:107]// 00000000608C: D3F30068 1DA2558A
	v_mfma_f32_16x16x32_fp8_fp8 v[104:107], a[140:141], a[44:45], v[104:107]// 000000006094: D3F30068 1DA2598C
	v_mfma_f32_16x16x32_fp8_fp8 v[104:107], a[142:143], a[46:47], v[104:107]// 00000000609C: D3F30068 1DA25D8E
	v_mfma_f32_16x16x32_fp8_fp8 v[116:119], a[144:145], a[40:41], v[116:119]// 0000000060A4: D3F30074 1DD25190
	v_mfma_f32_16x16x32_fp8_fp8 v[116:119], a[146:147], a[42:43], v[116:119]// 0000000060AC: D3F30074 1DD25592
	v_mfma_f32_16x16x32_fp8_fp8 v[116:119], a[148:149], a[44:45], v[116:119]// 0000000060B4: D3F30074 1DD25994
	v_mfma_f32_16x16x32_fp8_fp8 v[116:119], a[150:151], a[46:47], v[116:119]// 0000000060BC: D3F30074 1DD25D96
	v_mfma_f32_16x16x32_fp8_fp8 v[128:131], a[152:153], a[40:41], v[128:131]// 0000000060C4: D3F30080 1E025198
	v_mfma_f32_16x16x32_fp8_fp8 v[128:131], a[154:155], a[42:43], v[128:131]// 0000000060CC: D3F30080 1E02559A
	v_mfma_f32_16x16x32_fp8_fp8 v[128:131], a[156:157], a[44:45], v[128:131]// 0000000060D4: D3F30080 1E02599C
	v_mfma_f32_16x16x32_fp8_fp8 v[128:131], a[158:159], a[46:47], v[128:131]// 0000000060DC: D3F30080 1E025D9E
	v_mfma_f32_16x16x32_fp8_fp8 v[140:143], a[160:161], a[40:41], v[140:143]// 0000000060E4: D3F3008C 1E3251A0
	v_mfma_f32_16x16x32_fp8_fp8 v[140:143], a[162:163], a[42:43], v[140:143]// 0000000060EC: D3F3008C 1E3255A2
	v_mfma_f32_16x16x32_fp8_fp8 v[140:143], a[164:165], a[44:45], v[140:143]// 0000000060F4: D3F3008C 1E3259A4
	v_mfma_f32_16x16x32_fp8_fp8 v[140:143], a[166:167], a[46:47], v[140:143]// 0000000060FC: D3F3008C 1E325DA6
	v_mfma_f32_16x16x32_fp8_fp8 v[152:155], a[168:169], a[40:41], v[152:155]// 000000006104: D3F30098 1E6251A8
	v_mfma_f32_16x16x32_fp8_fp8 v[152:155], a[170:171], a[42:43], v[152:155]// 00000000610C: D3F30098 1E6255AA
	v_mfma_f32_16x16x32_fp8_fp8 v[152:155], a[172:173], a[44:45], v[152:155]// 000000006114: D3F30098 1E6259AC
	v_mfma_f32_16x16x32_fp8_fp8 v[152:155], a[174:175], a[46:47], v[152:155]// 00000000611C: D3F30098 1E625DAE
	s_waitcnt vmcnt(22)                                        // 000000006124: BF8C4F76
	s_barrier                                                  // 000000006128: BF8A0000
	v_mfma_f32_16x16x32_fp8_fp8 v[156:159], a[176:177], a[24:25], v[156:159]// 00000000612C: D3F3009C 1E7231B0
	v_mfma_f32_16x16x32_fp8_fp8 v[156:159], a[178:179], a[26:27], v[156:159]// 000000006134: D3F3009C 1E7235B2
	buffer_load_dwordx4 a[112:115], v49, s[84:87], 0 offen     // 00000000613C: E05C1000 80957031
	v_mfma_f32_16x16x32_fp8_fp8 v[156:159], a[180:181], a[28:29], v[156:159]// 000000006144: D3F3009C 1E7239B4
	v_mfma_f32_16x16x32_fp8_fp8 v[156:159], a[182:183], a[30:31], v[156:159]// 00000000614C: D3F3009C 1E723DB6
	ds_read_b128 a[0:3], v2                                    // 000000006154: DBFE0000 00000002
	ds_read_b128 a[4:7], v2 offset:64                          // 00000000615C: DBFE0040 04000002
	v_mfma_f32_16x16x32_fp8_fp8 v[168:171], a[184:185], a[24:25], v[168:171]// 000000006164: D3F300A8 1EA231B8
	v_mfma_f32_16x16x32_fp8_fp8 v[168:171], a[186:187], a[26:27], v[168:171]// 00000000616C: D3F300A8 1EA235BA
	buffer_load_dwordx4 a[116:119], v49, s[84:87], 0 offen offset:1024// 000000006174: E05C1400 80957431
	v_mfma_f32_16x16x32_fp8_fp8 v[168:171], a[188:189], a[28:29], v[168:171]// 00000000617C: D3F300A8 1EA239BC
	v_mfma_f32_16x16x32_fp8_fp8 v[168:171], a[190:191], a[30:31], v[168:171]// 000000006184: D3F300A8 1EA23DBE
	ds_read_b128 a[8:11], v2 offset:512                        // 00000000618C: DBFE0200 08000002
	ds_read_b128 a[12:15], v2 offset:576                       // 000000006194: DBFE0240 0C000002
	v_mfma_f32_16x16x32_fp8_fp8 v[180:183], a[192:193], a[24:25], v[180:183]// 00000000619C: D3F300B4 1ED231C0
	v_mfma_f32_16x16x32_fp8_fp8 v[180:183], a[194:195], a[26:27], v[180:183]// 0000000061A4: D3F300B4 1ED235C2
	buffer_load_dwordx4 a[120:123], v50, s[84:87], 0 offen     // 0000000061AC: E05C1000 80957832
	v_mfma_f32_16x16x32_fp8_fp8 v[180:183], a[196:197], a[28:29], v[180:183]// 0000000061B4: D3F300B4 1ED239C4
	v_mfma_f32_16x16x32_fp8_fp8 v[180:183], a[198:199], a[30:31], v[180:183]// 0000000061BC: D3F300B4 1ED23DC6
	ds_read_b128 a[16:19], v2 offset:1024                      // 0000000061C4: DBFE0400 10000002
	ds_read_b128 a[20:23], v2 offset:1088                      // 0000000061CC: DBFE0440 14000002
	v_mfma_f32_16x16x32_fp8_fp8 v[192:195], a[200:201], a[24:25], v[192:195]// 0000000061D4: D3F300C0 1F0231C8
	v_mfma_f32_16x16x32_fp8_fp8 v[192:195], a[202:203], a[26:27], v[192:195]// 0000000061DC: D3F300C0 1F0235CA
	buffer_load_dwordx4 a[124:127], v50, s[84:87], 0 offen offset:1024// 0000000061E4: E05C1400 80957C32
	v_mfma_f32_16x16x32_fp8_fp8 v[192:195], a[204:205], a[28:29], v[192:195]// 0000000061EC: D3F300C0 1F0239CC
	v_mfma_f32_16x16x32_fp8_fp8 v[192:195], a[206:207], a[30:31], v[192:195]// 0000000061F4: D3F300C0 1F023DCE
	v_mfma_f32_16x16x32_fp8_fp8 v[204:207], a[208:209], a[24:25], v[204:207]// 0000000061FC: D3F300CC 1F3231D0
	v_mfma_f32_16x16x32_fp8_fp8 v[204:207], a[210:211], a[26:27], v[204:207]// 000000006204: D3F300CC 1F3235D2
	buffer_load_dwordx4 a[128:131], v51, s[84:87], 0 offen     // 00000000620C: E05C1000 80958033
	v_mfma_f32_16x16x32_fp8_fp8 v[204:207], a[212:213], a[28:29], v[204:207]// 000000006214: D3F300CC 1F3239D4
	v_mfma_f32_16x16x32_fp8_fp8 v[204:207], a[214:215], a[30:31], v[204:207]// 00000000621C: D3F300CC 1F323DD6
	v_mfma_f32_16x16x32_fp8_fp8 v[216:219], a[216:217], a[24:25], v[216:219]// 000000006224: D3F300D8 1F6231D8
	v_mfma_f32_16x16x32_fp8_fp8 v[216:219], a[218:219], a[26:27], v[216:219]// 00000000622C: D3F300D8 1F6235DA
	buffer_load_dwordx4 a[132:135], v51, s[84:87], 0 offen offset:1024// 000000006234: E05C1400 80958433
	v_mfma_f32_16x16x32_fp8_fp8 v[216:219], a[220:221], a[28:29], v[216:219]// 00000000623C: D3F300D8 1F6239DC
	v_mfma_f32_16x16x32_fp8_fp8 v[216:219], a[222:223], a[30:31], v[216:219]// 000000006244: D3F300D8 1F623DDE
	v_mfma_f32_16x16x32_fp8_fp8 v[228:231], a[224:225], a[24:25], v[228:231]// 00000000624C: D3F300E4 1F9231E0
	v_mfma_f32_16x16x32_fp8_fp8 v[228:231], a[226:227], a[26:27], v[228:231]// 000000006254: D3F300E4 1F9235E2
	buffer_load_dwordx4 a[136:139], v52, s[84:87], 0 offen     // 00000000625C: E05C1000 80958834
	v_mfma_f32_16x16x32_fp8_fp8 v[228:231], a[228:229], a[28:29], v[228:231]// 000000006264: D3F300E4 1F9239E4
	v_mfma_f32_16x16x32_fp8_fp8 v[228:231], a[230:231], a[30:31], v[228:231]// 00000000626C: D3F300E4 1F923DE6
	v_mfma_f32_16x16x32_fp8_fp8 v[240:243], a[232:233], a[24:25], v[240:243]// 000000006274: D3F300F0 1FC231E8
	v_mfma_f32_16x16x32_fp8_fp8 v[240:243], a[234:235], a[26:27], v[240:243]// 00000000627C: D3F300F0 1FC235EA
	buffer_load_dwordx4 a[140:143], v52, s[84:87], 0 offen offset:1024// 000000006284: E05C1400 80958C34
	v_mfma_f32_16x16x32_fp8_fp8 v[240:243], a[236:237], a[28:29], v[240:243]// 00000000628C: D3F300F0 1FC239EC
	v_mfma_f32_16x16x32_fp8_fp8 v[240:243], a[238:239], a[30:31], v[240:243]// 000000006294: D3F300F0 1FC23DEE
	v_mfma_f32_16x16x32_fp8_fp8 v[160:163], a[176:177], a[32:33], v[160:163]// 00000000629C: D3F300A0 1E8241B0
	v_mfma_f32_16x16x32_fp8_fp8 v[160:163], a[178:179], a[34:35], v[160:163]// 0000000062A4: D3F300A0 1E8245B2
	buffer_load_dwordx4 a[144:147], v53, s[84:87], 0 offen     // 0000000062AC: E05C1000 80959035
	v_mfma_f32_16x16x32_fp8_fp8 v[160:163], a[180:181], a[36:37], v[160:163]// 0000000062B4: D3F300A0 1E8249B4
	v_mfma_f32_16x16x32_fp8_fp8 v[160:163], a[182:183], a[38:39], v[160:163]// 0000000062BC: D3F300A0 1E824DB6
	v_mfma_f32_16x16x32_fp8_fp8 v[172:175], a[184:185], a[32:33], v[172:175]// 0000000062C4: D3F300AC 1EB241B8
	v_mfma_f32_16x16x32_fp8_fp8 v[172:175], a[186:187], a[34:35], v[172:175]// 0000000062CC: D3F300AC 1EB245BA
	buffer_load_dwordx4 a[148:151], v53, s[84:87], 0 offen offset:1024// 0000000062D4: E05C1400 80959435
	v_mfma_f32_16x16x32_fp8_fp8 v[172:175], a[188:189], a[36:37], v[172:175]// 0000000062DC: D3F300AC 1EB249BC
	v_mfma_f32_16x16x32_fp8_fp8 v[172:175], a[190:191], a[38:39], v[172:175]// 0000000062E4: D3F300AC 1EB24DBE
	v_mfma_f32_16x16x32_fp8_fp8 v[184:187], a[192:193], a[32:33], v[184:187]// 0000000062EC: D3F300B8 1EE241C0
	v_mfma_f32_16x16x32_fp8_fp8 v[184:187], a[194:195], a[34:35], v[184:187]// 0000000062F4: D3F300B8 1EE245C2
	buffer_load_dwordx4 a[152:155], v54, s[84:87], 0 offen     // 0000000062FC: E05C1000 80959836
	v_mfma_f32_16x16x32_fp8_fp8 v[184:187], a[196:197], a[36:37], v[184:187]// 000000006304: D3F300B8 1EE249C4
	v_mfma_f32_16x16x32_fp8_fp8 v[184:187], a[198:199], a[38:39], v[184:187]// 00000000630C: D3F300B8 1EE24DC6
	v_mfma_f32_16x16x32_fp8_fp8 v[196:199], a[200:201], a[32:33], v[196:199]// 000000006314: D3F300C4 1F1241C8
	v_mfma_f32_16x16x32_fp8_fp8 v[196:199], a[202:203], a[34:35], v[196:199]// 00000000631C: D3F300C4 1F1245CA
	buffer_load_dwordx4 a[156:159], v54, s[84:87], 0 offen offset:1024// 000000006324: E05C1400 80959C36
	v_mfma_f32_16x16x32_fp8_fp8 v[196:199], a[204:205], a[36:37], v[196:199]// 00000000632C: D3F300C4 1F1249CC
	v_mfma_f32_16x16x32_fp8_fp8 v[196:199], a[206:207], a[38:39], v[196:199]// 000000006334: D3F300C4 1F124DCE
	v_mfma_f32_16x16x32_fp8_fp8 v[208:211], a[208:209], a[32:33], v[208:211]// 00000000633C: D3F300D0 1F4241D0
	v_mfma_f32_16x16x32_fp8_fp8 v[208:211], a[210:211], a[34:35], v[208:211]// 000000006344: D3F300D0 1F4245D2
	buffer_load_dwordx4 a[160:163], v55, s[84:87], 0 offen     // 00000000634C: E05C1000 8095A037
	v_mfma_f32_16x16x32_fp8_fp8 v[208:211], a[212:213], a[36:37], v[208:211]// 000000006354: D3F300D0 1F4249D4
	v_mfma_f32_16x16x32_fp8_fp8 v[208:211], a[214:215], a[38:39], v[208:211]// 00000000635C: D3F300D0 1F424DD6
	v_mfma_f32_16x16x32_fp8_fp8 v[220:223], a[216:217], a[32:33], v[220:223]// 000000006364: D3F300DC 1F7241D8
	v_mfma_f32_16x16x32_fp8_fp8 v[220:223], a[218:219], a[34:35], v[220:223]// 00000000636C: D3F300DC 1F7245DA
	buffer_load_dwordx4 a[164:167], v55, s[84:87], 0 offen offset:1024// 000000006374: E05C1400 8095A437
	v_mfma_f32_16x16x32_fp8_fp8 v[220:223], a[220:221], a[36:37], v[220:223]// 00000000637C: D3F300DC 1F7249DC
	v_mfma_f32_16x16x32_fp8_fp8 v[220:223], a[222:223], a[38:39], v[220:223]// 000000006384: D3F300DC 1F724DDE
	v_mfma_f32_16x16x32_fp8_fp8 v[232:235], a[224:225], a[32:33], v[232:235]// 00000000638C: D3F300E8 1FA241E0
	v_mfma_f32_16x16x32_fp8_fp8 v[232:235], a[226:227], a[34:35], v[232:235]// 000000006394: D3F300E8 1FA245E2
	buffer_load_dwordx4 a[168:171], v56, s[84:87], 0 offen     // 00000000639C: E05C1000 8095A838
	v_mfma_f32_16x16x32_fp8_fp8 v[232:235], a[228:229], a[36:37], v[232:235]// 0000000063A4: D3F300E8 1FA249E4
	v_mfma_f32_16x16x32_fp8_fp8 v[232:235], a[230:231], a[38:39], v[232:235]// 0000000063AC: D3F300E8 1FA24DE6
	v_mfma_f32_16x16x32_fp8_fp8 v[244:247], a[232:233], a[32:33], v[244:247]// 0000000063B4: D3F300F4 1FD241E8
	v_mfma_f32_16x16x32_fp8_fp8 v[244:247], a[234:235], a[34:35], v[244:247]// 0000000063BC: D3F300F4 1FD245EA
	buffer_load_dwordx4 a[172:175], v56, s[84:87], 0 offen offset:1024// 0000000063C4: E05C1400 8095AC38
	v_mfma_f32_16x16x32_fp8_fp8 v[244:247], a[236:237], a[36:37], v[244:247]// 0000000063CC: D3F300F4 1FD249EC
	v_mfma_f32_16x16x32_fp8_fp8 v[244:247], a[238:239], a[38:39], v[244:247]// 0000000063D4: D3F300F4 1FD24DEE
	v_mfma_f32_16x16x32_fp8_fp8 v[164:167], a[176:177], a[40:41], v[164:167]// 0000000063DC: D3F300A4 1E9251B0
	v_mfma_f32_16x16x32_fp8_fp8 v[164:167], a[178:179], a[42:43], v[164:167]// 0000000063E4: D3F300A4 1E9255B2
	v_mfma_f32_16x16x32_fp8_fp8 v[164:167], a[180:181], a[44:45], v[164:167]// 0000000063EC: D3F300A4 1E9259B4
	v_mfma_f32_16x16x32_fp8_fp8 v[164:167], a[182:183], a[46:47], v[164:167]// 0000000063F4: D3F300A4 1E925DB6
	v_mfma_f32_16x16x32_fp8_fp8 v[176:179], a[184:185], a[40:41], v[176:179]// 0000000063FC: D3F300B0 1EC251B8
	v_mfma_f32_16x16x32_fp8_fp8 v[176:179], a[186:187], a[42:43], v[176:179]// 000000006404: D3F300B0 1EC255BA
	v_mfma_f32_16x16x32_fp8_fp8 v[176:179], a[188:189], a[44:45], v[176:179]// 00000000640C: D3F300B0 1EC259BC
	v_mfma_f32_16x16x32_fp8_fp8 v[176:179], a[190:191], a[46:47], v[176:179]// 000000006414: D3F300B0 1EC25DBE
	v_mfma_f32_16x16x32_fp8_fp8 v[188:191], a[192:193], a[40:41], v[188:191]// 00000000641C: D3F300BC 1EF251C0
	v_mfma_f32_16x16x32_fp8_fp8 v[188:191], a[194:195], a[42:43], v[188:191]// 000000006424: D3F300BC 1EF255C2
	v_mfma_f32_16x16x32_fp8_fp8 v[188:191], a[196:197], a[44:45], v[188:191]// 00000000642C: D3F300BC 1EF259C4
	v_mfma_f32_16x16x32_fp8_fp8 v[188:191], a[198:199], a[46:47], v[188:191]// 000000006434: D3F300BC 1EF25DC6
	v_mfma_f32_16x16x32_fp8_fp8 v[200:203], a[200:201], a[40:41], v[200:203]// 00000000643C: D3F300C8 1F2251C8
	v_mfma_f32_16x16x32_fp8_fp8 v[200:203], a[202:203], a[42:43], v[200:203]// 000000006444: D3F300C8 1F2255CA
	v_mfma_f32_16x16x32_fp8_fp8 v[200:203], a[204:205], a[44:45], v[200:203]// 00000000644C: D3F300C8 1F2259CC
	v_mfma_f32_16x16x32_fp8_fp8 v[200:203], a[206:207], a[46:47], v[200:203]// 000000006454: D3F300C8 1F225DCE
	v_mfma_f32_16x16x32_fp8_fp8 v[212:215], a[208:209], a[40:41], v[212:215]// 00000000645C: D3F300D4 1F5251D0
	v_mfma_f32_16x16x32_fp8_fp8 v[212:215], a[210:211], a[42:43], v[212:215]// 000000006464: D3F300D4 1F5255D2
	v_mfma_f32_16x16x32_fp8_fp8 v[212:215], a[212:213], a[44:45], v[212:215]// 00000000646C: D3F300D4 1F5259D4
	v_mfma_f32_16x16x32_fp8_fp8 v[212:215], a[214:215], a[46:47], v[212:215]// 000000006474: D3F300D4 1F525DD6
	v_mfma_f32_16x16x32_fp8_fp8 v[224:227], a[216:217], a[40:41], v[224:227]// 00000000647C: D3F300E0 1F8251D8
	v_mfma_f32_16x16x32_fp8_fp8 v[224:227], a[218:219], a[42:43], v[224:227]// 000000006484: D3F300E0 1F8255DA
	v_mfma_f32_16x16x32_fp8_fp8 v[224:227], a[220:221], a[44:45], v[224:227]// 00000000648C: D3F300E0 1F8259DC
	v_mfma_f32_16x16x32_fp8_fp8 v[224:227], a[222:223], a[46:47], v[224:227]// 000000006494: D3F300E0 1F825DDE
	v_mfma_f32_16x16x32_fp8_fp8 v[236:239], a[224:225], a[40:41], v[236:239]// 00000000649C: D3F300EC 1FB251E0
	s_add_u32 s60, 0x180, s80                                  // 0000000064A4: 803C50FF 00000180
	s_cmp_lt_u32 s60, s81                                      // 0000000064AC: BF0A513C
	s_cselect_b32 s57, s57, 0                                  // 0000000064B0: 85398039
	v_mfma_f32_16x16x32_fp8_fp8 v[236:239], a[226:227], a[42:43], v[236:239]// 0000000064B4: D3F300EC 1FB255E2
	s_add_u32 s60, 0x100, s80                                  // 0000000064BC: 803C50FF 00000100
	s_cmp_lt_u32 s60, s81                                      // 0000000064C4: BF0A513C
	s_cselect_b32 s58, s58, 0                                  // 0000000064C8: 853A803A
	v_mfma_f32_16x16x32_fp8_fp8 v[236:239], a[228:229], a[44:45], v[236:239]// 0000000064CC: D3F300EC 1FB259E4
	s_add_u32 s60, 0x100, s80                                  // 0000000064D4: 803C50FF 00000100
	s_cmp_lt_u32 s60, s81                                      // 0000000064DC: BF0A513C
	s_cselect_b32 s83, s83, 0                                  // 0000000064E0: 85538053
	v_mfma_f32_16x16x32_fp8_fp8 v[236:239], a[230:231], a[46:47], v[236:239]// 0000000064E4: D3F300EC 1FB25DE6
	s_add_u32 s24, s58, s24                                    // 0000000064EC: 8018183A
	s_addc_u32 s25, 0, s25                                     // 0000000064F0: 82191980
	v_mfma_f32_16x16x32_fp8_fp8 v[248:251], a[232:233], a[40:41], v[248:251]// 0000000064F4: D3F300F8 1FE251E8
	s_add_u32 s20, s57, s20                                    // 0000000064FC: 80141439
	s_addc_u32 s21, 0, s21                                     // 000000006500: 82151580
	v_mfma_f32_16x16x32_fp8_fp8 v[248:251], a[234:235], a[42:43], v[248:251]// 000000006504: D3F300F8 1FE255EA
	s_add_u32 s84, s83, s84                                    // 00000000650C: 80545453
	s_addc_u32 s85, 0, s85                                     // 000000006510: 82555580
	v_mfma_f32_16x16x32_fp8_fp8 v[248:251], a[236:237], a[44:45], v[248:251]// 000000006514: D3F300F8 1FE259EC
	v_mfma_f32_16x16x32_fp8_fp8 v[248:251], a[238:239], a[46:47], v[248:251]// 00000000651C: D3F300F8 1FE25DEE
	s_addk_i32 s80, 0x80                                       // 000000006524: B7500080
	s_cmp_lt_i32 s80, s81                                      // 000000006528: BF045150
	s_cbranch_scc0 label_0ECD                                  // 00000000652C: BF840001
	s_branch label_02EA                                        // 000000006530: BF82F41D

0000000000006534 <label_0ECD>:
	v_mul_f32_dpp v60, v25, v60 row_newbcast:0 row_mask:0xf bank_mask:0xf// 000000006534: 0A7878FA FF015019
	v_mul_f32_dpp v61, v25, v61 row_newbcast:1 row_mask:0xf bank_mask:0xf// 00000000653C: 0A7A7AFA FF015119
	v_mul_f32_dpp v62, v25, v62 row_newbcast:2 row_mask:0xf bank_mask:0xf// 000000006544: 0A7C7CFA FF015219
	v_mul_f32_dpp v63, v25, v63 row_newbcast:3 row_mask:0xf bank_mask:0xf// 00000000654C: 0A7E7EFA FF015319
	v_mul_f32_dpp v64, v25, v64 row_newbcast:0 row_mask:0xf bank_mask:0xf// 000000006554: 0A8080FA FF015019
	v_mul_f32_dpp v65, v25, v65 row_newbcast:1 row_mask:0xf bank_mask:0xf// 00000000655C: 0A8282FA FF015119
	v_mul_f32_dpp v66, v25, v66 row_newbcast:2 row_mask:0xf bank_mask:0xf// 000000006564: 0A8484FA FF015219
	v_mul_f32_dpp v67, v25, v67 row_newbcast:3 row_mask:0xf bank_mask:0xf// 00000000656C: 0A8686FA FF015319
	v_mul_f32_dpp v68, v25, v68 row_newbcast:0 row_mask:0xf bank_mask:0xf// 000000006574: 0A8888FA FF015019
	v_mul_f32_dpp v69, v25, v69 row_newbcast:1 row_mask:0xf bank_mask:0xf// 00000000657C: 0A8A8AFA FF015119
	v_mul_f32_dpp v70, v25, v70 row_newbcast:2 row_mask:0xf bank_mask:0xf// 000000006584: 0A8C8CFA FF015219
	v_mul_f32_dpp v71, v25, v71 row_newbcast:3 row_mask:0xf bank_mask:0xf// 00000000658C: 0A8E8EFA FF015319
	v_mul_f32_dpp v72, v25, v72 row_newbcast:4 row_mask:0xf bank_mask:0xf// 000000006594: 0A9090FA FF015419
	v_mul_f32_dpp v73, v25, v73 row_newbcast:5 row_mask:0xf bank_mask:0xf// 00000000659C: 0A9292FA FF015519
	v_mul_f32_dpp v74, v25, v74 row_newbcast:6 row_mask:0xf bank_mask:0xf// 0000000065A4: 0A9494FA FF015619
	v_mul_f32_dpp v75, v25, v75 row_newbcast:7 row_mask:0xf bank_mask:0xf// 0000000065AC: 0A9696FA FF015719
	v_mul_f32_dpp v76, v25, v76 row_newbcast:4 row_mask:0xf bank_mask:0xf// 0000000065B4: 0A9898FA FF015419
	v_mul_f32_dpp v77, v25, v77 row_newbcast:5 row_mask:0xf bank_mask:0xf// 0000000065BC: 0A9A9AFA FF015519
	v_mul_f32_dpp v78, v25, v78 row_newbcast:6 row_mask:0xf bank_mask:0xf// 0000000065C4: 0A9C9CFA FF015619
	v_mul_f32_dpp v79, v25, v79 row_newbcast:7 row_mask:0xf bank_mask:0xf// 0000000065CC: 0A9E9EFA FF015719
	v_mul_f32_dpp v80, v25, v80 row_newbcast:4 row_mask:0xf bank_mask:0xf// 0000000065D4: 0AA0A0FA FF015419
	v_mul_f32_dpp v81, v25, v81 row_newbcast:5 row_mask:0xf bank_mask:0xf// 0000000065DC: 0AA2A2FA FF015519
	v_mul_f32_dpp v82, v25, v82 row_newbcast:6 row_mask:0xf bank_mask:0xf// 0000000065E4: 0AA4A4FA FF015619
	v_mul_f32_dpp v83, v25, v83 row_newbcast:7 row_mask:0xf bank_mask:0xf// 0000000065EC: 0AA6A6FA FF015719
	v_mul_f32_dpp v84, v25, v84 row_newbcast:8 row_mask:0xf bank_mask:0xf// 0000000065F4: 0AA8A8FA FF015819
	v_mul_f32_dpp v85, v25, v85 row_newbcast:9 row_mask:0xf bank_mask:0xf// 0000000065FC: 0AAAAAFA FF015919
	v_mul_f32_dpp v86, v25, v86 row_newbcast:10 row_mask:0xf bank_mask:0xf// 000000006604: 0AACACFA FF015A19
	v_mul_f32_dpp v87, v25, v87 row_newbcast:11 row_mask:0xf bank_mask:0xf// 00000000660C: 0AAEAEFA FF015B19
	v_mul_f32_dpp v88, v25, v88 row_newbcast:8 row_mask:0xf bank_mask:0xf// 000000006614: 0AB0B0FA FF015819
	v_mul_f32_dpp v89, v25, v89 row_newbcast:9 row_mask:0xf bank_mask:0xf// 00000000661C: 0AB2B2FA FF015919
	v_mul_f32_dpp v90, v25, v90 row_newbcast:10 row_mask:0xf bank_mask:0xf// 000000006624: 0AB4B4FA FF015A19
	v_mul_f32_dpp v91, v25, v91 row_newbcast:11 row_mask:0xf bank_mask:0xf// 00000000662C: 0AB6B6FA FF015B19
	v_mul_f32_dpp v92, v25, v92 row_newbcast:8 row_mask:0xf bank_mask:0xf// 000000006634: 0AB8B8FA FF015819
	v_mul_f32_dpp v93, v25, v93 row_newbcast:9 row_mask:0xf bank_mask:0xf// 00000000663C: 0ABABAFA FF015919
	v_mul_f32_dpp v94, v25, v94 row_newbcast:10 row_mask:0xf bank_mask:0xf// 000000006644: 0ABCBCFA FF015A19
	v_mul_f32_dpp v95, v25, v95 row_newbcast:11 row_mask:0xf bank_mask:0xf// 00000000664C: 0ABEBEFA FF015B19
	v_mul_f32_dpp v96, v25, v96 row_newbcast:12 row_mask:0xf bank_mask:0xf// 000000006654: 0AC0C0FA FF015C19
	v_mul_f32_dpp v97, v25, v97 row_newbcast:13 row_mask:0xf bank_mask:0xf// 00000000665C: 0AC2C2FA FF015D19
	v_mul_f32_dpp v98, v25, v98 row_newbcast:14 row_mask:0xf bank_mask:0xf// 000000006664: 0AC4C4FA FF015E19
	v_mul_f32_dpp v99, v25, v99 row_newbcast:15 row_mask:0xf bank_mask:0xf// 00000000666C: 0AC6C6FA FF015F19
	v_mul_f32_dpp v100, v25, v100 row_newbcast:12 row_mask:0xf bank_mask:0xf// 000000006674: 0AC8C8FA FF015C19
	v_mul_f32_dpp v101, v25, v101 row_newbcast:13 row_mask:0xf bank_mask:0xf// 00000000667C: 0ACACAFA FF015D19
	v_mul_f32_dpp v102, v25, v102 row_newbcast:14 row_mask:0xf bank_mask:0xf// 000000006684: 0ACCCCFA FF015E19
	v_mul_f32_dpp v103, v25, v103 row_newbcast:15 row_mask:0xf bank_mask:0xf// 00000000668C: 0ACECEFA FF015F19
	v_mul_f32_dpp v104, v25, v104 row_newbcast:12 row_mask:0xf bank_mask:0xf// 000000006694: 0AD0D0FA FF015C19
	v_mul_f32_dpp v105, v25, v105 row_newbcast:13 row_mask:0xf bank_mask:0xf// 00000000669C: 0AD2D2FA FF015D19
	v_mul_f32_dpp v106, v25, v106 row_newbcast:14 row_mask:0xf bank_mask:0xf// 0000000066A4: 0AD4D4FA FF015E19
	v_mul_f32_dpp v107, v25, v107 row_newbcast:15 row_mask:0xf bank_mask:0xf// 0000000066AC: 0AD6D6FA FF015F19
	v_mul_f32_dpp v108, v26, v108 row_newbcast:0 row_mask:0xf bank_mask:0xf// 0000000066B4: 0AD8D8FA FF01501A
	v_mul_f32_dpp v109, v26, v109 row_newbcast:1 row_mask:0xf bank_mask:0xf// 0000000066BC: 0ADADAFA FF01511A
	v_mul_f32_dpp v110, v26, v110 row_newbcast:2 row_mask:0xf bank_mask:0xf// 0000000066C4: 0ADCDCFA FF01521A
	v_mul_f32_dpp v111, v26, v111 row_newbcast:3 row_mask:0xf bank_mask:0xf// 0000000066CC: 0ADEDEFA FF01531A
	v_mul_f32_dpp v112, v26, v112 row_newbcast:0 row_mask:0xf bank_mask:0xf// 0000000066D4: 0AE0E0FA FF01501A
	v_mul_f32_dpp v113, v26, v113 row_newbcast:1 row_mask:0xf bank_mask:0xf// 0000000066DC: 0AE2E2FA FF01511A
	v_mul_f32_dpp v114, v26, v114 row_newbcast:2 row_mask:0xf bank_mask:0xf// 0000000066E4: 0AE4E4FA FF01521A
	v_mul_f32_dpp v115, v26, v115 row_newbcast:3 row_mask:0xf bank_mask:0xf// 0000000066EC: 0AE6E6FA FF01531A
	v_mul_f32_dpp v116, v26, v116 row_newbcast:0 row_mask:0xf bank_mask:0xf// 0000000066F4: 0AE8E8FA FF01501A
	v_mul_f32_dpp v117, v26, v117 row_newbcast:1 row_mask:0xf bank_mask:0xf// 0000000066FC: 0AEAEAFA FF01511A
	v_mul_f32_dpp v118, v26, v118 row_newbcast:2 row_mask:0xf bank_mask:0xf// 000000006704: 0AECECFA FF01521A
	v_mul_f32_dpp v119, v26, v119 row_newbcast:3 row_mask:0xf bank_mask:0xf// 00000000670C: 0AEEEEFA FF01531A
	v_mul_f32_dpp v120, v26, v120 row_newbcast:4 row_mask:0xf bank_mask:0xf// 000000006714: 0AF0F0FA FF01541A
	v_mul_f32_dpp v121, v26, v121 row_newbcast:5 row_mask:0xf bank_mask:0xf// 00000000671C: 0AF2F2FA FF01551A
	v_mul_f32_dpp v122, v26, v122 row_newbcast:6 row_mask:0xf bank_mask:0xf// 000000006724: 0AF4F4FA FF01561A
	v_mul_f32_dpp v123, v26, v123 row_newbcast:7 row_mask:0xf bank_mask:0xf// 00000000672C: 0AF6F6FA FF01571A
	v_mul_f32_dpp v124, v26, v124 row_newbcast:4 row_mask:0xf bank_mask:0xf// 000000006734: 0AF8F8FA FF01541A
	v_mul_f32_dpp v125, v26, v125 row_newbcast:5 row_mask:0xf bank_mask:0xf// 00000000673C: 0AFAFAFA FF01551A
	v_mul_f32_dpp v126, v26, v126 row_newbcast:6 row_mask:0xf bank_mask:0xf// 000000006744: 0AFCFCFA FF01561A
	v_mul_f32_dpp v127, v26, v127 row_newbcast:7 row_mask:0xf bank_mask:0xf// 00000000674C: 0AFEFEFA FF01571A
	v_mul_f32_dpp v128, v26, v128 row_newbcast:4 row_mask:0xf bank_mask:0xf// 000000006754: 0B0100FA FF01541A
	v_mul_f32_dpp v129, v26, v129 row_newbcast:5 row_mask:0xf bank_mask:0xf// 00000000675C: 0B0302FA FF01551A
	v_mul_f32_dpp v130, v26, v130 row_newbcast:6 row_mask:0xf bank_mask:0xf// 000000006764: 0B0504FA FF01561A
	v_mul_f32_dpp v131, v26, v131 row_newbcast:7 row_mask:0xf bank_mask:0xf// 00000000676C: 0B0706FA FF01571A
	v_mul_f32_dpp v132, v26, v132 row_newbcast:8 row_mask:0xf bank_mask:0xf// 000000006774: 0B0908FA FF01581A
	v_mul_f32_dpp v133, v26, v133 row_newbcast:9 row_mask:0xf bank_mask:0xf// 00000000677C: 0B0B0AFA FF01591A
	v_mul_f32_dpp v134, v26, v134 row_newbcast:10 row_mask:0xf bank_mask:0xf// 000000006784: 0B0D0CFA FF015A1A
	v_mul_f32_dpp v135, v26, v135 row_newbcast:11 row_mask:0xf bank_mask:0xf// 00000000678C: 0B0F0EFA FF015B1A
	v_mul_f32_dpp v136, v26, v136 row_newbcast:8 row_mask:0xf bank_mask:0xf// 000000006794: 0B1110FA FF01581A
	v_mul_f32_dpp v137, v26, v137 row_newbcast:9 row_mask:0xf bank_mask:0xf// 00000000679C: 0B1312FA FF01591A
	v_mul_f32_dpp v138, v26, v138 row_newbcast:10 row_mask:0xf bank_mask:0xf// 0000000067A4: 0B1514FA FF015A1A
	v_mul_f32_dpp v139, v26, v139 row_newbcast:11 row_mask:0xf bank_mask:0xf// 0000000067AC: 0B1716FA FF015B1A
	v_mul_f32_dpp v140, v26, v140 row_newbcast:8 row_mask:0xf bank_mask:0xf// 0000000067B4: 0B1918FA FF01581A
	v_mul_f32_dpp v141, v26, v141 row_newbcast:9 row_mask:0xf bank_mask:0xf// 0000000067BC: 0B1B1AFA FF01591A
	v_mul_f32_dpp v142, v26, v142 row_newbcast:10 row_mask:0xf bank_mask:0xf// 0000000067C4: 0B1D1CFA FF015A1A
	v_mul_f32_dpp v143, v26, v143 row_newbcast:11 row_mask:0xf bank_mask:0xf// 0000000067CC: 0B1F1EFA FF015B1A
	v_mul_f32_dpp v144, v26, v144 row_newbcast:12 row_mask:0xf bank_mask:0xf// 0000000067D4: 0B2120FA FF015C1A
	v_mul_f32_dpp v145, v26, v145 row_newbcast:13 row_mask:0xf bank_mask:0xf// 0000000067DC: 0B2322FA FF015D1A
	v_mul_f32_dpp v146, v26, v146 row_newbcast:14 row_mask:0xf bank_mask:0xf// 0000000067E4: 0B2524FA FF015E1A
	v_mul_f32_dpp v147, v26, v147 row_newbcast:15 row_mask:0xf bank_mask:0xf// 0000000067EC: 0B2726FA FF015F1A
	v_mul_f32_dpp v148, v26, v148 row_newbcast:12 row_mask:0xf bank_mask:0xf// 0000000067F4: 0B2928FA FF015C1A
	v_mul_f32_dpp v149, v26, v149 row_newbcast:13 row_mask:0xf bank_mask:0xf// 0000000067FC: 0B2B2AFA FF015D1A
	v_mul_f32_dpp v150, v26, v150 row_newbcast:14 row_mask:0xf bank_mask:0xf// 000000006804: 0B2D2CFA FF015E1A
	v_mul_f32_dpp v151, v26, v151 row_newbcast:15 row_mask:0xf bank_mask:0xf// 00000000680C: 0B2F2EFA FF015F1A
	v_mul_f32_dpp v152, v26, v152 row_newbcast:12 row_mask:0xf bank_mask:0xf// 000000006814: 0B3130FA FF015C1A
	v_mul_f32_dpp v153, v26, v153 row_newbcast:13 row_mask:0xf bank_mask:0xf// 00000000681C: 0B3332FA FF015D1A
	v_mul_f32_dpp v154, v26, v154 row_newbcast:14 row_mask:0xf bank_mask:0xf// 000000006824: 0B3534FA FF015E1A
	v_mul_f32_dpp v155, v26, v155 row_newbcast:15 row_mask:0xf bank_mask:0xf// 00000000682C: 0B3736FA FF015F1A
	v_mul_f32_dpp v156, v28, v156 row_newbcast:0 row_mask:0xf bank_mask:0xf// 000000006834: 0B3938FA FF01501C
	v_mul_f32_dpp v157, v28, v157 row_newbcast:1 row_mask:0xf bank_mask:0xf// 00000000683C: 0B3B3AFA FF01511C
	v_mul_f32_dpp v158, v28, v158 row_newbcast:2 row_mask:0xf bank_mask:0xf// 000000006844: 0B3D3CFA FF01521C
	v_mul_f32_dpp v159, v28, v159 row_newbcast:3 row_mask:0xf bank_mask:0xf// 00000000684C: 0B3F3EFA FF01531C
	v_mul_f32_dpp v160, v28, v160 row_newbcast:0 row_mask:0xf bank_mask:0xf// 000000006854: 0B4140FA FF01501C
	v_mul_f32_dpp v161, v28, v161 row_newbcast:1 row_mask:0xf bank_mask:0xf// 00000000685C: 0B4342FA FF01511C
	v_mul_f32_dpp v162, v28, v162 row_newbcast:2 row_mask:0xf bank_mask:0xf// 000000006864: 0B4544FA FF01521C
	v_mul_f32_dpp v163, v28, v163 row_newbcast:3 row_mask:0xf bank_mask:0xf// 00000000686C: 0B4746FA FF01531C
	v_mul_f32_dpp v164, v28, v164 row_newbcast:0 row_mask:0xf bank_mask:0xf// 000000006874: 0B4948FA FF01501C
	v_mul_f32_dpp v165, v28, v165 row_newbcast:1 row_mask:0xf bank_mask:0xf// 00000000687C: 0B4B4AFA FF01511C
	v_mul_f32_dpp v166, v28, v166 row_newbcast:2 row_mask:0xf bank_mask:0xf// 000000006884: 0B4D4CFA FF01521C
	v_mul_f32_dpp v167, v28, v167 row_newbcast:3 row_mask:0xf bank_mask:0xf// 00000000688C: 0B4F4EFA FF01531C
	v_mul_f32_dpp v168, v28, v168 row_newbcast:4 row_mask:0xf bank_mask:0xf// 000000006894: 0B5150FA FF01541C
	v_mul_f32_dpp v169, v28, v169 row_newbcast:5 row_mask:0xf bank_mask:0xf// 00000000689C: 0B5352FA FF01551C
	v_mul_f32_dpp v170, v28, v170 row_newbcast:6 row_mask:0xf bank_mask:0xf// 0000000068A4: 0B5554FA FF01561C
	v_mul_f32_dpp v171, v28, v171 row_newbcast:7 row_mask:0xf bank_mask:0xf// 0000000068AC: 0B5756FA FF01571C
	v_mul_f32_dpp v172, v28, v172 row_newbcast:4 row_mask:0xf bank_mask:0xf// 0000000068B4: 0B5958FA FF01541C
	v_mul_f32_dpp v173, v28, v173 row_newbcast:5 row_mask:0xf bank_mask:0xf// 0000000068BC: 0B5B5AFA FF01551C
	v_mul_f32_dpp v174, v28, v174 row_newbcast:6 row_mask:0xf bank_mask:0xf// 0000000068C4: 0B5D5CFA FF01561C
	v_mul_f32_dpp v175, v28, v175 row_newbcast:7 row_mask:0xf bank_mask:0xf// 0000000068CC: 0B5F5EFA FF01571C
	v_mul_f32_dpp v176, v28, v176 row_newbcast:4 row_mask:0xf bank_mask:0xf// 0000000068D4: 0B6160FA FF01541C
	v_mul_f32_dpp v177, v28, v177 row_newbcast:5 row_mask:0xf bank_mask:0xf// 0000000068DC: 0B6362FA FF01551C
	v_mul_f32_dpp v178, v28, v178 row_newbcast:6 row_mask:0xf bank_mask:0xf// 0000000068E4: 0B6564FA FF01561C
	v_mul_f32_dpp v179, v28, v179 row_newbcast:7 row_mask:0xf bank_mask:0xf// 0000000068EC: 0B6766FA FF01571C
	v_mul_f32_dpp v180, v28, v180 row_newbcast:8 row_mask:0xf bank_mask:0xf// 0000000068F4: 0B6968FA FF01581C
	v_mul_f32_dpp v181, v28, v181 row_newbcast:9 row_mask:0xf bank_mask:0xf// 0000000068FC: 0B6B6AFA FF01591C
	v_mul_f32_dpp v182, v28, v182 row_newbcast:10 row_mask:0xf bank_mask:0xf// 000000006904: 0B6D6CFA FF015A1C
	v_mul_f32_dpp v183, v28, v183 row_newbcast:11 row_mask:0xf bank_mask:0xf// 00000000690C: 0B6F6EFA FF015B1C
	v_mul_f32_dpp v184, v28, v184 row_newbcast:8 row_mask:0xf bank_mask:0xf// 000000006914: 0B7170FA FF01581C
	v_mul_f32_dpp v185, v28, v185 row_newbcast:9 row_mask:0xf bank_mask:0xf// 00000000691C: 0B7372FA FF01591C
	v_mul_f32_dpp v186, v28, v186 row_newbcast:10 row_mask:0xf bank_mask:0xf// 000000006924: 0B7574FA FF015A1C
	v_mul_f32_dpp v187, v28, v187 row_newbcast:11 row_mask:0xf bank_mask:0xf// 00000000692C: 0B7776FA FF015B1C
	v_mul_f32_dpp v188, v28, v188 row_newbcast:8 row_mask:0xf bank_mask:0xf// 000000006934: 0B7978FA FF01581C
	v_mul_f32_dpp v189, v28, v189 row_newbcast:9 row_mask:0xf bank_mask:0xf// 00000000693C: 0B7B7AFA FF01591C
	v_mul_f32_dpp v190, v28, v190 row_newbcast:10 row_mask:0xf bank_mask:0xf// 000000006944: 0B7D7CFA FF015A1C
	v_mul_f32_dpp v191, v28, v191 row_newbcast:11 row_mask:0xf bank_mask:0xf// 00000000694C: 0B7F7EFA FF015B1C
	v_mul_f32_dpp v192, v28, v192 row_newbcast:12 row_mask:0xf bank_mask:0xf// 000000006954: 0B8180FA FF015C1C
	v_mul_f32_dpp v193, v28, v193 row_newbcast:13 row_mask:0xf bank_mask:0xf// 00000000695C: 0B8382FA FF015D1C
	v_mul_f32_dpp v194, v28, v194 row_newbcast:14 row_mask:0xf bank_mask:0xf// 000000006964: 0B8584FA FF015E1C
	v_mul_f32_dpp v195, v28, v195 row_newbcast:15 row_mask:0xf bank_mask:0xf// 00000000696C: 0B8786FA FF015F1C
	v_mul_f32_dpp v196, v28, v196 row_newbcast:12 row_mask:0xf bank_mask:0xf// 000000006974: 0B8988FA FF015C1C
	v_mul_f32_dpp v197, v28, v197 row_newbcast:13 row_mask:0xf bank_mask:0xf// 00000000697C: 0B8B8AFA FF015D1C
	v_mul_f32_dpp v198, v28, v198 row_newbcast:14 row_mask:0xf bank_mask:0xf// 000000006984: 0B8D8CFA FF015E1C
	v_mul_f32_dpp v199, v28, v199 row_newbcast:15 row_mask:0xf bank_mask:0xf// 00000000698C: 0B8F8EFA FF015F1C
	v_mul_f32_dpp v200, v28, v200 row_newbcast:12 row_mask:0xf bank_mask:0xf// 000000006994: 0B9190FA FF015C1C
	v_mul_f32_dpp v201, v28, v201 row_newbcast:13 row_mask:0xf bank_mask:0xf// 00000000699C: 0B9392FA FF015D1C
	v_mul_f32_dpp v202, v28, v202 row_newbcast:14 row_mask:0xf bank_mask:0xf// 0000000069A4: 0B9594FA FF015E1C
	v_mul_f32_dpp v203, v28, v203 row_newbcast:15 row_mask:0xf bank_mask:0xf// 0000000069AC: 0B9796FA FF015F1C
	v_mul_f32_dpp v204, v29, v204 row_newbcast:0 row_mask:0xf bank_mask:0xf// 0000000069B4: 0B9998FA FF01501D
	v_mul_f32_dpp v205, v29, v205 row_newbcast:1 row_mask:0xf bank_mask:0xf// 0000000069BC: 0B9B9AFA FF01511D
	v_mul_f32_dpp v206, v29, v206 row_newbcast:2 row_mask:0xf bank_mask:0xf// 0000000069C4: 0B9D9CFA FF01521D
	v_mul_f32_dpp v207, v29, v207 row_newbcast:3 row_mask:0xf bank_mask:0xf// 0000000069CC: 0B9F9EFA FF01531D
	v_mul_f32_dpp v208, v29, v208 row_newbcast:0 row_mask:0xf bank_mask:0xf// 0000000069D4: 0BA1A0FA FF01501D
	v_mul_f32_dpp v209, v29, v209 row_newbcast:1 row_mask:0xf bank_mask:0xf// 0000000069DC: 0BA3A2FA FF01511D
	v_mul_f32_dpp v210, v29, v210 row_newbcast:2 row_mask:0xf bank_mask:0xf// 0000000069E4: 0BA5A4FA FF01521D
	v_mul_f32_dpp v211, v29, v211 row_newbcast:3 row_mask:0xf bank_mask:0xf// 0000000069EC: 0BA7A6FA FF01531D
	v_mul_f32_dpp v212, v29, v212 row_newbcast:0 row_mask:0xf bank_mask:0xf// 0000000069F4: 0BA9A8FA FF01501D
	v_mul_f32_dpp v213, v29, v213 row_newbcast:1 row_mask:0xf bank_mask:0xf// 0000000069FC: 0BABAAFA FF01511D
	v_mul_f32_dpp v214, v29, v214 row_newbcast:2 row_mask:0xf bank_mask:0xf// 000000006A04: 0BADACFA FF01521D
	v_mul_f32_dpp v215, v29, v215 row_newbcast:3 row_mask:0xf bank_mask:0xf// 000000006A0C: 0BAFAEFA FF01531D
	v_mul_f32_dpp v216, v29, v216 row_newbcast:4 row_mask:0xf bank_mask:0xf// 000000006A14: 0BB1B0FA FF01541D
	v_mul_f32_dpp v217, v29, v217 row_newbcast:5 row_mask:0xf bank_mask:0xf// 000000006A1C: 0BB3B2FA FF01551D
	v_mul_f32_dpp v218, v29, v218 row_newbcast:6 row_mask:0xf bank_mask:0xf// 000000006A24: 0BB5B4FA FF01561D
	v_mul_f32_dpp v219, v29, v219 row_newbcast:7 row_mask:0xf bank_mask:0xf// 000000006A2C: 0BB7B6FA FF01571D
	v_mul_f32_dpp v220, v29, v220 row_newbcast:4 row_mask:0xf bank_mask:0xf// 000000006A34: 0BB9B8FA FF01541D
	v_mul_f32_dpp v221, v29, v221 row_newbcast:5 row_mask:0xf bank_mask:0xf// 000000006A3C: 0BBBBAFA FF01551D
	v_mul_f32_dpp v222, v29, v222 row_newbcast:6 row_mask:0xf bank_mask:0xf// 000000006A44: 0BBDBCFA FF01561D
	v_mul_f32_dpp v223, v29, v223 row_newbcast:7 row_mask:0xf bank_mask:0xf// 000000006A4C: 0BBFBEFA FF01571D
	v_mul_f32_dpp v224, v29, v224 row_newbcast:4 row_mask:0xf bank_mask:0xf// 000000006A54: 0BC1C0FA FF01541D
	v_mul_f32_dpp v225, v29, v225 row_newbcast:5 row_mask:0xf bank_mask:0xf// 000000006A5C: 0BC3C2FA FF01551D
	v_mul_f32_dpp v226, v29, v226 row_newbcast:6 row_mask:0xf bank_mask:0xf// 000000006A64: 0BC5C4FA FF01561D
	v_mul_f32_dpp v227, v29, v227 row_newbcast:7 row_mask:0xf bank_mask:0xf// 000000006A6C: 0BC7C6FA FF01571D
	v_mul_f32_dpp v228, v29, v228 row_newbcast:8 row_mask:0xf bank_mask:0xf// 000000006A74: 0BC9C8FA FF01581D
	v_mul_f32_dpp v229, v29, v229 row_newbcast:9 row_mask:0xf bank_mask:0xf// 000000006A7C: 0BCBCAFA FF01591D
	v_mul_f32_dpp v230, v29, v230 row_newbcast:10 row_mask:0xf bank_mask:0xf// 000000006A84: 0BCDCCFA FF015A1D
	v_mul_f32_dpp v231, v29, v231 row_newbcast:11 row_mask:0xf bank_mask:0xf// 000000006A8C: 0BCFCEFA FF015B1D
	v_mul_f32_dpp v232, v29, v232 row_newbcast:8 row_mask:0xf bank_mask:0xf// 000000006A94: 0BD1D0FA FF01581D
	v_mul_f32_dpp v233, v29, v233 row_newbcast:9 row_mask:0xf bank_mask:0xf// 000000006A9C: 0BD3D2FA FF01591D
	v_mul_f32_dpp v234, v29, v234 row_newbcast:10 row_mask:0xf bank_mask:0xf// 000000006AA4: 0BD5D4FA FF015A1D
	v_mul_f32_dpp v235, v29, v235 row_newbcast:11 row_mask:0xf bank_mask:0xf// 000000006AAC: 0BD7D6FA FF015B1D
	v_mul_f32_dpp v236, v29, v236 row_newbcast:8 row_mask:0xf bank_mask:0xf// 000000006AB4: 0BD9D8FA FF01581D
	v_mul_f32_dpp v237, v29, v237 row_newbcast:9 row_mask:0xf bank_mask:0xf// 000000006ABC: 0BDBDAFA FF01591D
	v_mul_f32_dpp v238, v29, v238 row_newbcast:10 row_mask:0xf bank_mask:0xf// 000000006AC4: 0BDDDCFA FF015A1D
	v_mul_f32_dpp v239, v29, v239 row_newbcast:11 row_mask:0xf bank_mask:0xf// 000000006ACC: 0BDFDEFA FF015B1D
	v_mul_f32_dpp v240, v29, v240 row_newbcast:12 row_mask:0xf bank_mask:0xf// 000000006AD4: 0BE1E0FA FF015C1D
	v_mul_f32_dpp v241, v29, v241 row_newbcast:13 row_mask:0xf bank_mask:0xf// 000000006ADC: 0BE3E2FA FF015D1D
	v_mul_f32_dpp v242, v29, v242 row_newbcast:14 row_mask:0xf bank_mask:0xf// 000000006AE4: 0BE5E4FA FF015E1D
	v_mul_f32_dpp v243, v29, v243 row_newbcast:15 row_mask:0xf bank_mask:0xf// 000000006AEC: 0BE7E6FA FF015F1D
	v_mul_f32_dpp v244, v29, v244 row_newbcast:12 row_mask:0xf bank_mask:0xf// 000000006AF4: 0BE9E8FA FF015C1D
	v_mul_f32_dpp v245, v29, v245 row_newbcast:13 row_mask:0xf bank_mask:0xf// 000000006AFC: 0BEBEAFA FF015D1D
	v_mul_f32_dpp v246, v29, v246 row_newbcast:14 row_mask:0xf bank_mask:0xf// 000000006B04: 0BEDECFA FF015E1D
	v_mul_f32_dpp v247, v29, v247 row_newbcast:15 row_mask:0xf bank_mask:0xf// 000000006B0C: 0BEFEEFA FF015F1D
	v_mul_f32_dpp v248, v29, v248 row_newbcast:12 row_mask:0xf bank_mask:0xf// 000000006B14: 0BF1F0FA FF015C1D
	v_mul_f32_dpp v249, v29, v249 row_newbcast:13 row_mask:0xf bank_mask:0xf// 000000006B1C: 0BF3F2FA FF015D1D
	v_mul_f32_dpp v250, v29, v250 row_newbcast:14 row_mask:0xf bank_mask:0xf// 000000006B24: 0BF5F4FA FF015E1D
	v_mul_f32_dpp v251, v29, v251 row_newbcast:15 row_mask:0xf bank_mask:0xf// 000000006B2C: 0BF7F6FA FF015F1D
	v_mov_b32_e32 v4, v34                                      // 000000006B34: 7E080322
	v_mov_b32_e32 v5, v4                                       // 000000006B38: 7E0A0304
	v_pk_mul_f32 v[60:61], v[4:5], v[60:61]                    // 000000006B3C: D3B1403C 18027904
	v_pk_mul_f32 v[156:157], v[4:5], v[156:157]                // 000000006B44: D3B1409C 18033904
	v_pk_mul_f32 v[62:63], v[4:5], v[62:63]                    // 000000006B4C: D3B1403E 18027D04
	v_pk_mul_f32 v[158:159], v[4:5], v[158:159]                // 000000006B54: D3B1409E 18033D04
	v_pk_mul_f32 v[72:73], v[4:5], v[72:73]                    // 000000006B5C: D3B14048 18029104
	v_pk_mul_f32 v[168:169], v[4:5], v[168:169]                // 000000006B64: D3B140A8 18035104
	v_pk_mul_f32 v[74:75], v[4:5], v[74:75]                    // 000000006B6C: D3B1404A 18029504
	v_pk_mul_f32 v[170:171], v[4:5], v[170:171]                // 000000006B74: D3B140AA 18035504
	v_pk_mul_f32 v[84:85], v[4:5], v[84:85]                    // 000000006B7C: D3B14054 1802A904
	v_pk_mul_f32 v[180:181], v[4:5], v[180:181]                // 000000006B84: D3B140B4 18036904
	v_pk_mul_f32 v[86:87], v[4:5], v[86:87]                    // 000000006B8C: D3B14056 1802AD04
	v_pk_mul_f32 v[182:183], v[4:5], v[182:183]                // 000000006B94: D3B140B6 18036D04
	v_pk_mul_f32 v[96:97], v[4:5], v[96:97]                    // 000000006B9C: D3B14060 1802C104
	v_pk_mul_f32 v[192:193], v[4:5], v[192:193]                // 000000006BA4: D3B140C0 18038104
	v_pk_mul_f32 v[98:99], v[4:5], v[98:99]                    // 000000006BAC: D3B14062 1802C504
	v_pk_mul_f32 v[194:195], v[4:5], v[194:195]                // 000000006BB4: D3B140C2 18038504
	v_pk_mul_f32 v[108:109], v[4:5], v[108:109]                // 000000006BBC: D3B1406C 1802D904
	v_pk_mul_f32 v[204:205], v[4:5], v[204:205]                // 000000006BC4: D3B140CC 18039904
	v_pk_mul_f32 v[110:111], v[4:5], v[110:111]                // 000000006BCC: D3B1406E 1802DD04
	v_pk_mul_f32 v[206:207], v[4:5], v[206:207]                // 000000006BD4: D3B140CE 18039D04
	v_pk_mul_f32 v[120:121], v[4:5], v[120:121]                // 000000006BDC: D3B14078 1802F104
	v_pk_mul_f32 v[216:217], v[4:5], v[216:217]                // 000000006BE4: D3B140D8 1803B104
	v_pk_mul_f32 v[122:123], v[4:5], v[122:123]                // 000000006BEC: D3B1407A 1802F504
	v_pk_mul_f32 v[218:219], v[4:5], v[218:219]                // 000000006BF4: D3B140DA 1803B504
	v_pk_mul_f32 v[132:133], v[4:5], v[132:133]                // 000000006BFC: D3B14084 18030904
	v_pk_mul_f32 v[228:229], v[4:5], v[228:229]                // 000000006C04: D3B140E4 1803C904
	v_pk_mul_f32 v[134:135], v[4:5], v[134:135]                // 000000006C0C: D3B14086 18030D04
	v_pk_mul_f32 v[230:231], v[4:5], v[230:231]                // 000000006C14: D3B140E6 1803CD04
	v_pk_mul_f32 v[144:145], v[4:5], v[144:145]                // 000000006C1C: D3B14090 18032104
	v_pk_mul_f32 v[240:241], v[4:5], v[240:241]                // 000000006C24: D3B140F0 1803E104
	v_pk_mul_f32 v[146:147], v[4:5], v[146:147]                // 000000006C2C: D3B14092 18032504
	v_pk_mul_f32 v[242:243], v[4:5], v[242:243]                // 000000006C34: D3B140F2 1803E504
	v_mov_b32_e32 v4, v35                                      // 000000006C3C: 7E080323
	v_mov_b32_e32 v5, v4                                       // 000000006C40: 7E0A0304
	v_pk_mul_f32 v[64:65], v[4:5], v[64:65]                    // 000000006C44: D3B14040 18028104
	v_pk_mul_f32 v[160:161], v[4:5], v[160:161]                // 000000006C4C: D3B140A0 18034104
	v_pk_mul_f32 v[66:67], v[4:5], v[66:67]                    // 000000006C54: D3B14042 18028504
	v_pk_mul_f32 v[162:163], v[4:5], v[162:163]                // 000000006C5C: D3B140A2 18034504
	v_pk_mul_f32 v[76:77], v[4:5], v[76:77]                    // 000000006C64: D3B1404C 18029904
	v_pk_mul_f32 v[172:173], v[4:5], v[172:173]                // 000000006C6C: D3B140AC 18035904
	v_pk_mul_f32 v[78:79], v[4:5], v[78:79]                    // 000000006C74: D3B1404E 18029D04
	v_pk_mul_f32 v[174:175], v[4:5], v[174:175]                // 000000006C7C: D3B140AE 18035D04
	v_pk_mul_f32 v[88:89], v[4:5], v[88:89]                    // 000000006C84: D3B14058 1802B104
	v_pk_mul_f32 v[184:185], v[4:5], v[184:185]                // 000000006C8C: D3B140B8 18037104
	v_pk_mul_f32 v[90:91], v[4:5], v[90:91]                    // 000000006C94: D3B1405A 1802B504
	v_pk_mul_f32 v[186:187], v[4:5], v[186:187]                // 000000006C9C: D3B140BA 18037504
	v_pk_mul_f32 v[100:101], v[4:5], v[100:101]                // 000000006CA4: D3B14064 1802C904
	v_pk_mul_f32 v[196:197], v[4:5], v[196:197]                // 000000006CAC: D3B140C4 18038904
	v_pk_mul_f32 v[102:103], v[4:5], v[102:103]                // 000000006CB4: D3B14066 1802CD04
	v_pk_mul_f32 v[198:199], v[4:5], v[198:199]                // 000000006CBC: D3B140C6 18038D04
	v_pk_mul_f32 v[112:113], v[4:5], v[112:113]                // 000000006CC4: D3B14070 1802E104
	v_pk_mul_f32 v[208:209], v[4:5], v[208:209]                // 000000006CCC: D3B140D0 1803A104
	v_pk_mul_f32 v[114:115], v[4:5], v[114:115]                // 000000006CD4: D3B14072 1802E504
	v_pk_mul_f32 v[210:211], v[4:5], v[210:211]                // 000000006CDC: D3B140D2 1803A504
	v_pk_mul_f32 v[124:125], v[4:5], v[124:125]                // 000000006CE4: D3B1407C 1802F904
	v_pk_mul_f32 v[220:221], v[4:5], v[220:221]                // 000000006CEC: D3B140DC 1803B904
	v_pk_mul_f32 v[126:127], v[4:5], v[126:127]                // 000000006CF4: D3B1407E 1802FD04
	v_pk_mul_f32 v[222:223], v[4:5], v[222:223]                // 000000006CFC: D3B140DE 1803BD04
	v_pk_mul_f32 v[136:137], v[4:5], v[136:137]                // 000000006D04: D3B14088 18031104
	v_pk_mul_f32 v[232:233], v[4:5], v[232:233]                // 000000006D0C: D3B140E8 1803D104
	v_pk_mul_f32 v[138:139], v[4:5], v[138:139]                // 000000006D14: D3B1408A 18031504
	v_pk_mul_f32 v[234:235], v[4:5], v[234:235]                // 000000006D1C: D3B140EA 1803D504
	v_pk_mul_f32 v[148:149], v[4:5], v[148:149]                // 000000006D24: D3B14094 18032904
	v_pk_mul_f32 v[244:245], v[4:5], v[244:245]                // 000000006D2C: D3B140F4 1803E904
	v_pk_mul_f32 v[150:151], v[4:5], v[150:151]                // 000000006D34: D3B14096 18032D04
	v_pk_mul_f32 v[246:247], v[4:5], v[246:247]                // 000000006D3C: D3B140F6 1803ED04
	v_mov_b32_e32 v4, v36                                      // 000000006D44: 7E080324
	v_mov_b32_e32 v5, v4                                       // 000000006D48: 7E0A0304
	v_pk_mul_f32 v[68:69], v[4:5], v[68:69]                    // 000000006D4C: D3B14044 18028904
	v_pk_mul_f32 v[164:165], v[4:5], v[164:165]                // 000000006D54: D3B140A4 18034904
	v_pk_mul_f32 v[70:71], v[4:5], v[70:71]                    // 000000006D5C: D3B14046 18028D04
	v_pk_mul_f32 v[166:167], v[4:5], v[166:167]                // 000000006D64: D3B140A6 18034D04
	v_pk_mul_f32 v[80:81], v[4:5], v[80:81]                    // 000000006D6C: D3B14050 1802A104
	v_pk_mul_f32 v[176:177], v[4:5], v[176:177]                // 000000006D74: D3B140B0 18036104
	v_pk_mul_f32 v[82:83], v[4:5], v[82:83]                    // 000000006D7C: D3B14052 1802A504
	v_pk_mul_f32 v[178:179], v[4:5], v[178:179]                // 000000006D84: D3B140B2 18036504
	v_pk_mul_f32 v[92:93], v[4:5], v[92:93]                    // 000000006D8C: D3B1405C 1802B904
	v_pk_mul_f32 v[188:189], v[4:5], v[188:189]                // 000000006D94: D3B140BC 18037904
	v_pk_mul_f32 v[94:95], v[4:5], v[94:95]                    // 000000006D9C: D3B1405E 1802BD04
	v_pk_mul_f32 v[190:191], v[4:5], v[190:191]                // 000000006DA4: D3B140BE 18037D04
	v_pk_mul_f32 v[104:105], v[4:5], v[104:105]                // 000000006DAC: D3B14068 1802D104
	v_pk_mul_f32 v[200:201], v[4:5], v[200:201]                // 000000006DB4: D3B140C8 18039104
	v_pk_mul_f32 v[106:107], v[4:5], v[106:107]                // 000000006DBC: D3B1406A 1802D504
	v_pk_mul_f32 v[202:203], v[4:5], v[202:203]                // 000000006DC4: D3B140CA 18039504
	v_pk_mul_f32 v[116:117], v[4:5], v[116:117]                // 000000006DCC: D3B14074 1802E904
	v_pk_mul_f32 v[212:213], v[4:5], v[212:213]                // 000000006DD4: D3B140D4 1803A904
	v_pk_mul_f32 v[118:119], v[4:5], v[118:119]                // 000000006DDC: D3B14076 1802ED04
	v_pk_mul_f32 v[214:215], v[4:5], v[214:215]                // 000000006DE4: D3B140D6 1803AD04
	v_pk_mul_f32 v[128:129], v[4:5], v[128:129]                // 000000006DEC: D3B14080 18030104
	v_pk_mul_f32 v[224:225], v[4:5], v[224:225]                // 000000006DF4: D3B140E0 1803C104
	v_pk_mul_f32 v[130:131], v[4:5], v[130:131]                // 000000006DFC: D3B14082 18030504
	v_pk_mul_f32 v[226:227], v[4:5], v[226:227]                // 000000006E04: D3B140E2 1803C504
	v_pk_mul_f32 v[140:141], v[4:5], v[140:141]                // 000000006E0C: D3B1408C 18031904
	v_pk_mul_f32 v[236:237], v[4:5], v[236:237]                // 000000006E14: D3B140EC 1803D904
	v_pk_mul_f32 v[142:143], v[4:5], v[142:143]                // 000000006E1C: D3B1408E 18031D04
	v_pk_mul_f32 v[238:239], v[4:5], v[238:239]                // 000000006E24: D3B140EE 1803DD04
	v_pk_mul_f32 v[152:153], v[4:5], v[152:153]                // 000000006E2C: D3B14098 18033104
	v_pk_mul_f32 v[248:249], v[4:5], v[248:249]                // 000000006E34: D3B140F8 1803F104
	v_pk_mul_f32 v[154:155], v[4:5], v[154:155]                // 000000006E3C: D3B1409A 18033504
	v_pk_mul_f32 v[250:251], v[4:5], v[250:251]                // 000000006E44: D3B140FA 1803F504
	s_cmp_eq_u32 s88, 0                                        // 000000006E4C: BF068058
	s_cbranch_scc0 label_1C6A                                  // 000000006E50: BF840B55
	s_cmp_eq_u32 s89, 0                                        // 000000006E54: BF068059
	s_cbranch_scc1 label_14DC                                  // 000000006E58: BF8503C5
	v_mov_b32_e32 v8, v1                                       // 000000006E5C: 7E100301
	v_mov_b32_e32 v9, v1                                       // 000000006E60: 7E120301
	s_mov_b32 s60, s6                                          // 000000006E64: BEBC0006
	s_mov_b32 s61, s6                                          // 000000006E68: BEBD0006
	v_pk_mul_f32 v[4:5], v[60:61], v[60:61]                    // 000000006E6C: D3B14004 1802793C
	v_pk_mul_f32 v[6:7], v[62:63], v[62:63]                    // 000000006E74: D3B14006 18027D3E
	v_pk_fma_f32 v[4:5], v[4:5], s[78:79], v[8:9]              // 000000006E7C: D3B04004 1C209D04
	v_pk_fma_f32 v[6:7], v[6:7], s[78:79], v[8:9]              // 000000006E84: D3B04006 1C209D06
	v_pk_mul_f32 v[4:5], v[4:5], v[60:61]                      // 000000006E8C: D3B14004 18027904
	v_pk_mul_f32 v[6:7], v[6:7], v[62:63]                      // 000000006E94: D3B14006 18027D06
	v_pk_mul_f32 v[4:5], v[4:5], s[60:61]                      // 000000006E9C: D3B14004 18007904
	v_pk_mul_f32 v[6:7], v[6:7], s[60:61]                      // 000000006EA4: D3B14006 18007906
	v_exp_f32_e32 v4, v4                                       // 000000006EAC: 7E084104
	v_exp_f32_e32 v5, v5                                       // 000000006EB0: 7E0A4105
	v_exp_f32_e32 v6, v6                                       // 000000006EB4: 7E0C4106
	v_exp_f32_e32 v7, v7                                       // 000000006EB8: 7E0E4107
	v_add_f32_e64 v4, v4, 1.0                                  // 000000006EBC: D1010004 0001E504
	v_add_f32_e64 v5, v5, 1.0                                  // 000000006EC4: D1010005 0001E505
	v_add_f32_e64 v6, v6, 1.0                                  // 000000006ECC: D1010006 0001E506
	v_add_f32_e64 v7, v7, 1.0                                  // 000000006ED4: D1010007 0001E507
	v_rcp_f32_e32 v4, v4                                       // 000000006EDC: 7E084504
	v_rcp_f32_e32 v5, v5                                       // 000000006EE0: 7E0A4505
	v_rcp_f32_e32 v6, v6                                       // 000000006EE4: 7E0C4506
	v_rcp_f32_e32 v7, v7                                       // 000000006EE8: 7E0E4507
	v_mul_f32_e32 v60, v60, v4                                 // 000000006EEC: 0A78093C
	v_mul_f32_e32 v61, v61, v5                                 // 000000006EF0: 0A7A0B3D
	v_mul_f32_e32 v62, v62, v6                                 // 000000006EF4: 0A7C0D3E
	v_mul_f32_e32 v63, v63, v7                                 // 000000006EF8: 0A7E0F3F
	v_mul_f32_e32 v60, v60, v156                               // 000000006EFC: 0A79393C
	v_mul_f32_e32 v61, v61, v157                               // 000000006F00: 0A7B3B3D
	v_mul_f32_e32 v62, v62, v158                               // 000000006F04: 0A7D3D3E
	v_mul_f32_e32 v63, v63, v159                               // 000000006F08: 0A7F3F3F
	v_pk_mul_f32 v[4:5], v[64:65], v[64:65]                    // 000000006F0C: D3B14004 18028140
	v_pk_mul_f32 v[6:7], v[66:67], v[66:67]                    // 000000006F14: D3B14006 18028542
	v_pk_fma_f32 v[4:5], v[4:5], s[78:79], v[8:9]              // 000000006F1C: D3B04004 1C209D04
	v_pk_fma_f32 v[6:7], v[6:7], s[78:79], v[8:9]              // 000000006F24: D3B04006 1C209D06
	v_pk_mul_f32 v[4:5], v[4:5], v[64:65]                      // 000000006F2C: D3B14004 18028104
	v_pk_mul_f32 v[6:7], v[6:7], v[66:67]                      // 000000006F34: D3B14006 18028506
	v_pk_mul_f32 v[4:5], v[4:5], s[60:61]                      // 000000006F3C: D3B14004 18007904
	v_pk_mul_f32 v[6:7], v[6:7], s[60:61]                      // 000000006F44: D3B14006 18007906
	v_exp_f32_e32 v4, v4                                       // 000000006F4C: 7E084104
	v_exp_f32_e32 v5, v5                                       // 000000006F50: 7E0A4105
	v_exp_f32_e32 v6, v6                                       // 000000006F54: 7E0C4106
	v_exp_f32_e32 v7, v7                                       // 000000006F58: 7E0E4107
	v_add_f32_e64 v4, v4, 1.0                                  // 000000006F5C: D1010004 0001E504
	v_add_f32_e64 v5, v5, 1.0                                  // 000000006F64: D1010005 0001E505
	v_add_f32_e64 v6, v6, 1.0                                  // 000000006F6C: D1010006 0001E506
	v_add_f32_e64 v7, v7, 1.0                                  // 000000006F74: D1010007 0001E507
	v_rcp_f32_e32 v4, v4                                       // 000000006F7C: 7E084504
	v_rcp_f32_e32 v5, v5                                       // 000000006F80: 7E0A4505
	v_rcp_f32_e32 v6, v6                                       // 000000006F84: 7E0C4506
	v_rcp_f32_e32 v7, v7                                       // 000000006F88: 7E0E4507
	v_mul_f32_e32 v64, v64, v4                                 // 000000006F8C: 0A800940
	v_mul_f32_e32 v65, v65, v5                                 // 000000006F90: 0A820B41
	v_mul_f32_e32 v66, v66, v6                                 // 000000006F94: 0A840D42
	v_mul_f32_e32 v67, v67, v7                                 // 000000006F98: 0A860F43
	v_mul_f32_e32 v64, v64, v160                               // 000000006F9C: 0A814140
	v_mul_f32_e32 v65, v65, v161                               // 000000006FA0: 0A834341
	v_mul_f32_e32 v66, v66, v162                               // 000000006FA4: 0A854542
	v_mul_f32_e32 v67, v67, v163                               // 000000006FA8: 0A874743
	v_pk_mul_f32 v[4:5], v[68:69], v[68:69]                    // 000000006FAC: D3B14004 18028944
	v_pk_mul_f32 v[6:7], v[70:71], v[70:71]                    // 000000006FB4: D3B14006 18028D46
	v_pk_fma_f32 v[4:5], v[4:5], s[78:79], v[8:9]              // 000000006FBC: D3B04004 1C209D04
	v_pk_fma_f32 v[6:7], v[6:7], s[78:79], v[8:9]              // 000000006FC4: D3B04006 1C209D06
	v_pk_mul_f32 v[4:5], v[4:5], v[68:69]                      // 000000006FCC: D3B14004 18028904
	v_pk_mul_f32 v[6:7], v[6:7], v[70:71]                      // 000000006FD4: D3B14006 18028D06
	v_pk_mul_f32 v[4:5], v[4:5], s[60:61]                      // 000000006FDC: D3B14004 18007904
	v_pk_mul_f32 v[6:7], v[6:7], s[60:61]                      // 000000006FE4: D3B14006 18007906
	v_exp_f32_e32 v4, v4                                       // 000000006FEC: 7E084104
	v_exp_f32_e32 v5, v5                                       // 000000006FF0: 7E0A4105
	v_exp_f32_e32 v6, v6                                       // 000000006FF4: 7E0C4106
	v_exp_f32_e32 v7, v7                                       // 000000006FF8: 7E0E4107
	v_add_f32_e64 v4, v4, 1.0                                  // 000000006FFC: D1010004 0001E504
	v_add_f32_e64 v5, v5, 1.0                                  // 000000007004: D1010005 0001E505
	v_add_f32_e64 v6, v6, 1.0                                  // 00000000700C: D1010006 0001E506
	v_add_f32_e64 v7, v7, 1.0                                  // 000000007014: D1010007 0001E507
	v_rcp_f32_e32 v4, v4                                       // 00000000701C: 7E084504
	v_rcp_f32_e32 v5, v5                                       // 000000007020: 7E0A4505
	v_rcp_f32_e32 v6, v6                                       // 000000007024: 7E0C4506
	v_rcp_f32_e32 v7, v7                                       // 000000007028: 7E0E4507
	v_mul_f32_e32 v68, v68, v4                                 // 00000000702C: 0A880944
	v_mul_f32_e32 v69, v69, v5                                 // 000000007030: 0A8A0B45
	v_mul_f32_e32 v70, v70, v6                                 // 000000007034: 0A8C0D46
	v_mul_f32_e32 v71, v71, v7                                 // 000000007038: 0A8E0F47
	v_mul_f32_e32 v68, v68, v164                               // 00000000703C: 0A894944
	v_mul_f32_e32 v69, v69, v165                               // 000000007040: 0A8B4B45
	v_mul_f32_e32 v70, v70, v166                               // 000000007044: 0A8D4D46
	v_mul_f32_e32 v71, v71, v167                               // 000000007048: 0A8F4F47
	v_pk_mul_f32 v[4:5], v[72:73], v[72:73]                    // 00000000704C: D3B14004 18029148
	v_pk_mul_f32 v[6:7], v[74:75], v[74:75]                    // 000000007054: D3B14006 1802954A
	v_pk_fma_f32 v[4:5], v[4:5], s[78:79], v[8:9]              // 00000000705C: D3B04004 1C209D04
	v_pk_fma_f32 v[6:7], v[6:7], s[78:79], v[8:9]              // 000000007064: D3B04006 1C209D06
	v_pk_mul_f32 v[4:5], v[4:5], v[72:73]                      // 00000000706C: D3B14004 18029104
	v_pk_mul_f32 v[6:7], v[6:7], v[74:75]                      // 000000007074: D3B14006 18029506
	v_pk_mul_f32 v[4:5], v[4:5], s[60:61]                      // 00000000707C: D3B14004 18007904
	v_pk_mul_f32 v[6:7], v[6:7], s[60:61]                      // 000000007084: D3B14006 18007906
	v_exp_f32_e32 v4, v4                                       // 00000000708C: 7E084104
	v_exp_f32_e32 v5, v5                                       // 000000007090: 7E0A4105
	v_exp_f32_e32 v6, v6                                       // 000000007094: 7E0C4106
	v_exp_f32_e32 v7, v7                                       // 000000007098: 7E0E4107
	v_add_f32_e64 v4, v4, 1.0                                  // 00000000709C: D1010004 0001E504
	v_add_f32_e64 v5, v5, 1.0                                  // 0000000070A4: D1010005 0001E505
	v_add_f32_e64 v6, v6, 1.0                                  // 0000000070AC: D1010006 0001E506
	v_add_f32_e64 v7, v7, 1.0                                  // 0000000070B4: D1010007 0001E507
	v_rcp_f32_e32 v4, v4                                       // 0000000070BC: 7E084504
	v_rcp_f32_e32 v5, v5                                       // 0000000070C0: 7E0A4505
	v_rcp_f32_e32 v6, v6                                       // 0000000070C4: 7E0C4506
	v_rcp_f32_e32 v7, v7                                       // 0000000070C8: 7E0E4507
	v_mul_f32_e32 v72, v72, v4                                 // 0000000070CC: 0A900948
	v_mul_f32_e32 v73, v73, v5                                 // 0000000070D0: 0A920B49
	v_mul_f32_e32 v74, v74, v6                                 // 0000000070D4: 0A940D4A
	v_mul_f32_e32 v75, v75, v7                                 // 0000000070D8: 0A960F4B
	v_mul_f32_e32 v72, v72, v168                               // 0000000070DC: 0A915148
	v_mul_f32_e32 v73, v73, v169                               // 0000000070E0: 0A935349
	v_mul_f32_e32 v74, v74, v170                               // 0000000070E4: 0A95554A
	v_mul_f32_e32 v75, v75, v171                               // 0000000070E8: 0A97574B
	v_pk_mul_f32 v[4:5], v[76:77], v[76:77]                    // 0000000070EC: D3B14004 1802994C
	v_pk_mul_f32 v[6:7], v[78:79], v[78:79]                    // 0000000070F4: D3B14006 18029D4E
	v_pk_fma_f32 v[4:5], v[4:5], s[78:79], v[8:9]              // 0000000070FC: D3B04004 1C209D04
	v_pk_fma_f32 v[6:7], v[6:7], s[78:79], v[8:9]              // 000000007104: D3B04006 1C209D06
	v_pk_mul_f32 v[4:5], v[4:5], v[76:77]                      // 00000000710C: D3B14004 18029904
	v_pk_mul_f32 v[6:7], v[6:7], v[78:79]                      // 000000007114: D3B14006 18029D06
	v_pk_mul_f32 v[4:5], v[4:5], s[60:61]                      // 00000000711C: D3B14004 18007904
	v_pk_mul_f32 v[6:7], v[6:7], s[60:61]                      // 000000007124: D3B14006 18007906
	v_exp_f32_e32 v4, v4                                       // 00000000712C: 7E084104
	v_exp_f32_e32 v5, v5                                       // 000000007130: 7E0A4105
	v_exp_f32_e32 v6, v6                                       // 000000007134: 7E0C4106
	v_exp_f32_e32 v7, v7                                       // 000000007138: 7E0E4107
	v_add_f32_e64 v4, v4, 1.0                                  // 00000000713C: D1010004 0001E504
	v_add_f32_e64 v5, v5, 1.0                                  // 000000007144: D1010005 0001E505
	v_add_f32_e64 v6, v6, 1.0                                  // 00000000714C: D1010006 0001E506
	v_add_f32_e64 v7, v7, 1.0                                  // 000000007154: D1010007 0001E507
	v_rcp_f32_e32 v4, v4                                       // 00000000715C: 7E084504
	v_rcp_f32_e32 v5, v5                                       // 000000007160: 7E0A4505
	v_rcp_f32_e32 v6, v6                                       // 000000007164: 7E0C4506
	v_rcp_f32_e32 v7, v7                                       // 000000007168: 7E0E4507
	v_mul_f32_e32 v76, v76, v4                                 // 00000000716C: 0A98094C
	v_mul_f32_e32 v77, v77, v5                                 // 000000007170: 0A9A0B4D
	v_mul_f32_e32 v78, v78, v6                                 // 000000007174: 0A9C0D4E
	v_mul_f32_e32 v79, v79, v7                                 // 000000007178: 0A9E0F4F
	v_mul_f32_e32 v76, v76, v172                               // 00000000717C: 0A99594C
	v_mul_f32_e32 v77, v77, v173                               // 000000007180: 0A9B5B4D
	v_mul_f32_e32 v78, v78, v174                               // 000000007184: 0A9D5D4E
	v_mul_f32_e32 v79, v79, v175                               // 000000007188: 0A9F5F4F
	v_pk_mul_f32 v[4:5], v[80:81], v[80:81]                    // 00000000718C: D3B14004 1802A150
	v_pk_mul_f32 v[6:7], v[82:83], v[82:83]                    // 000000007194: D3B14006 1802A552
	v_pk_fma_f32 v[4:5], v[4:5], s[78:79], v[8:9]              // 00000000719C: D3B04004 1C209D04
	v_pk_fma_f32 v[6:7], v[6:7], s[78:79], v[8:9]              // 0000000071A4: D3B04006 1C209D06
	v_pk_mul_f32 v[4:5], v[4:5], v[80:81]                      // 0000000071AC: D3B14004 1802A104
	v_pk_mul_f32 v[6:7], v[6:7], v[82:83]                      // 0000000071B4: D3B14006 1802A506
	v_pk_mul_f32 v[4:5], v[4:5], s[60:61]                      // 0000000071BC: D3B14004 18007904
	v_pk_mul_f32 v[6:7], v[6:7], s[60:61]                      // 0000000071C4: D3B14006 18007906
	v_exp_f32_e32 v4, v4                                       // 0000000071CC: 7E084104
	v_exp_f32_e32 v5, v5                                       // 0000000071D0: 7E0A4105
	v_exp_f32_e32 v6, v6                                       // 0000000071D4: 7E0C4106
	v_exp_f32_e32 v7, v7                                       // 0000000071D8: 7E0E4107
	v_add_f32_e64 v4, v4, 1.0                                  // 0000000071DC: D1010004 0001E504
	v_add_f32_e64 v5, v5, 1.0                                  // 0000000071E4: D1010005 0001E505
	v_add_f32_e64 v6, v6, 1.0                                  // 0000000071EC: D1010006 0001E506
	v_add_f32_e64 v7, v7, 1.0                                  // 0000000071F4: D1010007 0001E507
	v_rcp_f32_e32 v4, v4                                       // 0000000071FC: 7E084504
	v_rcp_f32_e32 v5, v5                                       // 000000007200: 7E0A4505
	v_rcp_f32_e32 v6, v6                                       // 000000007204: 7E0C4506
	v_rcp_f32_e32 v7, v7                                       // 000000007208: 7E0E4507
	v_mul_f32_e32 v80, v80, v4                                 // 00000000720C: 0AA00950
	v_mul_f32_e32 v81, v81, v5                                 // 000000007210: 0AA20B51
	v_mul_f32_e32 v82, v82, v6                                 // 000000007214: 0AA40D52
	v_mul_f32_e32 v83, v83, v7                                 // 000000007218: 0AA60F53
	v_mul_f32_e32 v80, v80, v176                               // 00000000721C: 0AA16150
	v_mul_f32_e32 v81, v81, v177                               // 000000007220: 0AA36351
	v_mul_f32_e32 v82, v82, v178                               // 000000007224: 0AA56552
	v_mul_f32_e32 v83, v83, v179                               // 000000007228: 0AA76753
	v_pk_mul_f32 v[4:5], v[84:85], v[84:85]                    // 00000000722C: D3B14004 1802A954
	v_pk_mul_f32 v[6:7], v[86:87], v[86:87]                    // 000000007234: D3B14006 1802AD56
	v_pk_fma_f32 v[4:5], v[4:5], s[78:79], v[8:9]              // 00000000723C: D3B04004 1C209D04
	v_pk_fma_f32 v[6:7], v[6:7], s[78:79], v[8:9]              // 000000007244: D3B04006 1C209D06
	v_pk_mul_f32 v[4:5], v[4:5], v[84:85]                      // 00000000724C: D3B14004 1802A904
	v_pk_mul_f32 v[6:7], v[6:7], v[86:87]                      // 000000007254: D3B14006 1802AD06
	v_pk_mul_f32 v[4:5], v[4:5], s[60:61]                      // 00000000725C: D3B14004 18007904
	v_pk_mul_f32 v[6:7], v[6:7], s[60:61]                      // 000000007264: D3B14006 18007906
	v_exp_f32_e32 v4, v4                                       // 00000000726C: 7E084104
	v_exp_f32_e32 v5, v5                                       // 000000007270: 7E0A4105
	v_exp_f32_e32 v6, v6                                       // 000000007274: 7E0C4106
	v_exp_f32_e32 v7, v7                                       // 000000007278: 7E0E4107
	v_add_f32_e64 v4, v4, 1.0                                  // 00000000727C: D1010004 0001E504
	v_add_f32_e64 v5, v5, 1.0                                  // 000000007284: D1010005 0001E505
	v_add_f32_e64 v6, v6, 1.0                                  // 00000000728C: D1010006 0001E506
	v_add_f32_e64 v7, v7, 1.0                                  // 000000007294: D1010007 0001E507
	v_rcp_f32_e32 v4, v4                                       // 00000000729C: 7E084504
	v_rcp_f32_e32 v5, v5                                       // 0000000072A0: 7E0A4505
	v_rcp_f32_e32 v6, v6                                       // 0000000072A4: 7E0C4506
	v_rcp_f32_e32 v7, v7                                       // 0000000072A8: 7E0E4507
	v_mul_f32_e32 v84, v84, v4                                 // 0000000072AC: 0AA80954
	v_mul_f32_e32 v85, v85, v5                                 // 0000000072B0: 0AAA0B55
	v_mul_f32_e32 v86, v86, v6                                 // 0000000072B4: 0AAC0D56
	v_mul_f32_e32 v87, v87, v7                                 // 0000000072B8: 0AAE0F57
	v_mul_f32_e32 v84, v84, v180                               // 0000000072BC: 0AA96954
	v_mul_f32_e32 v85, v85, v181                               // 0000000072C0: 0AAB6B55
	v_mul_f32_e32 v86, v86, v182                               // 0000000072C4: 0AAD6D56
	v_mul_f32_e32 v87, v87, v183                               // 0000000072C8: 0AAF6F57
	v_pk_mul_f32 v[4:5], v[88:89], v[88:89]                    // 0000000072CC: D3B14004 1802B158
	v_pk_mul_f32 v[6:7], v[90:91], v[90:91]                    // 0000000072D4: D3B14006 1802B55A
	v_pk_fma_f32 v[4:5], v[4:5], s[78:79], v[8:9]              // 0000000072DC: D3B04004 1C209D04
	v_pk_fma_f32 v[6:7], v[6:7], s[78:79], v[8:9]              // 0000000072E4: D3B04006 1C209D06
	v_pk_mul_f32 v[4:5], v[4:5], v[88:89]                      // 0000000072EC: D3B14004 1802B104
	v_pk_mul_f32 v[6:7], v[6:7], v[90:91]                      // 0000000072F4: D3B14006 1802B506
	v_pk_mul_f32 v[4:5], v[4:5], s[60:61]                      // 0000000072FC: D3B14004 18007904
	v_pk_mul_f32 v[6:7], v[6:7], s[60:61]                      // 000000007304: D3B14006 18007906
	v_exp_f32_e32 v4, v4                                       // 00000000730C: 7E084104
	v_exp_f32_e32 v5, v5                                       // 000000007310: 7E0A4105
	v_exp_f32_e32 v6, v6                                       // 000000007314: 7E0C4106
	v_exp_f32_e32 v7, v7                                       // 000000007318: 7E0E4107
	v_add_f32_e64 v4, v4, 1.0                                  // 00000000731C: D1010004 0001E504
	v_add_f32_e64 v5, v5, 1.0                                  // 000000007324: D1010005 0001E505
	v_add_f32_e64 v6, v6, 1.0                                  // 00000000732C: D1010006 0001E506
	v_add_f32_e64 v7, v7, 1.0                                  // 000000007334: D1010007 0001E507
	v_rcp_f32_e32 v4, v4                                       // 00000000733C: 7E084504
	v_rcp_f32_e32 v5, v5                                       // 000000007340: 7E0A4505
	v_rcp_f32_e32 v6, v6                                       // 000000007344: 7E0C4506
	v_rcp_f32_e32 v7, v7                                       // 000000007348: 7E0E4507
	v_mul_f32_e32 v88, v88, v4                                 // 00000000734C: 0AB00958
	v_mul_f32_e32 v89, v89, v5                                 // 000000007350: 0AB20B59
	v_mul_f32_e32 v90, v90, v6                                 // 000000007354: 0AB40D5A
	v_mul_f32_e32 v91, v91, v7                                 // 000000007358: 0AB60F5B
	v_mul_f32_e32 v88, v88, v184                               // 00000000735C: 0AB17158
	v_mul_f32_e32 v89, v89, v185                               // 000000007360: 0AB37359
	v_mul_f32_e32 v90, v90, v186                               // 000000007364: 0AB5755A
	v_mul_f32_e32 v91, v91, v187                               // 000000007368: 0AB7775B
	v_pk_mul_f32 v[4:5], v[92:93], v[92:93]                    // 00000000736C: D3B14004 1802B95C
	v_pk_mul_f32 v[6:7], v[94:95], v[94:95]                    // 000000007374: D3B14006 1802BD5E
	v_pk_fma_f32 v[4:5], v[4:5], s[78:79], v[8:9]              // 00000000737C: D3B04004 1C209D04
	v_pk_fma_f32 v[6:7], v[6:7], s[78:79], v[8:9]              // 000000007384: D3B04006 1C209D06
	v_pk_mul_f32 v[4:5], v[4:5], v[92:93]                      // 00000000738C: D3B14004 1802B904
	v_pk_mul_f32 v[6:7], v[6:7], v[94:95]                      // 000000007394: D3B14006 1802BD06
	v_pk_mul_f32 v[4:5], v[4:5], s[60:61]                      // 00000000739C: D3B14004 18007904
	v_pk_mul_f32 v[6:7], v[6:7], s[60:61]                      // 0000000073A4: D3B14006 18007906
	v_exp_f32_e32 v4, v4                                       // 0000000073AC: 7E084104
	v_exp_f32_e32 v5, v5                                       // 0000000073B0: 7E0A4105
	v_exp_f32_e32 v6, v6                                       // 0000000073B4: 7E0C4106
	v_exp_f32_e32 v7, v7                                       // 0000000073B8: 7E0E4107
	v_add_f32_e64 v4, v4, 1.0                                  // 0000000073BC: D1010004 0001E504
	v_add_f32_e64 v5, v5, 1.0                                  // 0000000073C4: D1010005 0001E505
	v_add_f32_e64 v6, v6, 1.0                                  // 0000000073CC: D1010006 0001E506
	v_add_f32_e64 v7, v7, 1.0                                  // 0000000073D4: D1010007 0001E507
	v_rcp_f32_e32 v4, v4                                       // 0000000073DC: 7E084504
	v_rcp_f32_e32 v5, v5                                       // 0000000073E0: 7E0A4505
	v_rcp_f32_e32 v6, v6                                       // 0000000073E4: 7E0C4506
	v_rcp_f32_e32 v7, v7                                       // 0000000073E8: 7E0E4507
	v_mul_f32_e32 v92, v92, v4                                 // 0000000073EC: 0AB8095C
	v_mul_f32_e32 v93, v93, v5                                 // 0000000073F0: 0ABA0B5D
	v_mul_f32_e32 v94, v94, v6                                 // 0000000073F4: 0ABC0D5E
	v_mul_f32_e32 v95, v95, v7                                 // 0000000073F8: 0ABE0F5F
	v_mul_f32_e32 v92, v92, v188                               // 0000000073FC: 0AB9795C
	v_mul_f32_e32 v93, v93, v189                               // 000000007400: 0ABB7B5D
	v_mul_f32_e32 v94, v94, v190                               // 000000007404: 0ABD7D5E
	v_mul_f32_e32 v95, v95, v191                               // 000000007408: 0ABF7F5F
	v_pk_mul_f32 v[4:5], v[96:97], v[96:97]                    // 00000000740C: D3B14004 1802C160
	v_pk_mul_f32 v[6:7], v[98:99], v[98:99]                    // 000000007414: D3B14006 1802C562
	v_pk_fma_f32 v[4:5], v[4:5], s[78:79], v[8:9]              // 00000000741C: D3B04004 1C209D04
	v_pk_fma_f32 v[6:7], v[6:7], s[78:79], v[8:9]              // 000000007424: D3B04006 1C209D06
	v_pk_mul_f32 v[4:5], v[4:5], v[96:97]                      // 00000000742C: D3B14004 1802C104
	v_pk_mul_f32 v[6:7], v[6:7], v[98:99]                      // 000000007434: D3B14006 1802C506
	v_pk_mul_f32 v[4:5], v[4:5], s[60:61]                      // 00000000743C: D3B14004 18007904
	v_pk_mul_f32 v[6:7], v[6:7], s[60:61]                      // 000000007444: D3B14006 18007906
	v_exp_f32_e32 v4, v4                                       // 00000000744C: 7E084104
	v_exp_f32_e32 v5, v5                                       // 000000007450: 7E0A4105
	v_exp_f32_e32 v6, v6                                       // 000000007454: 7E0C4106
	v_exp_f32_e32 v7, v7                                       // 000000007458: 7E0E4107
	v_add_f32_e64 v4, v4, 1.0                                  // 00000000745C: D1010004 0001E504
	v_add_f32_e64 v5, v5, 1.0                                  // 000000007464: D1010005 0001E505
	v_add_f32_e64 v6, v6, 1.0                                  // 00000000746C: D1010006 0001E506
	v_add_f32_e64 v7, v7, 1.0                                  // 000000007474: D1010007 0001E507
	v_rcp_f32_e32 v4, v4                                       // 00000000747C: 7E084504
	v_rcp_f32_e32 v5, v5                                       // 000000007480: 7E0A4505
	v_rcp_f32_e32 v6, v6                                       // 000000007484: 7E0C4506
	v_rcp_f32_e32 v7, v7                                       // 000000007488: 7E0E4507
	v_mul_f32_e32 v96, v96, v4                                 // 00000000748C: 0AC00960
	v_mul_f32_e32 v97, v97, v5                                 // 000000007490: 0AC20B61
	v_mul_f32_e32 v98, v98, v6                                 // 000000007494: 0AC40D62
	v_mul_f32_e32 v99, v99, v7                                 // 000000007498: 0AC60F63
	v_mul_f32_e32 v96, v96, v192                               // 00000000749C: 0AC18160
	v_mul_f32_e32 v97, v97, v193                               // 0000000074A0: 0AC38361
	v_mul_f32_e32 v98, v98, v194                               // 0000000074A4: 0AC58562
	v_mul_f32_e32 v99, v99, v195                               // 0000000074A8: 0AC78763
	v_pk_mul_f32 v[4:5], v[100:101], v[100:101]                // 0000000074AC: D3B14004 1802C964
	v_pk_mul_f32 v[6:7], v[102:103], v[102:103]                // 0000000074B4: D3B14006 1802CD66
	v_pk_fma_f32 v[4:5], v[4:5], s[78:79], v[8:9]              // 0000000074BC: D3B04004 1C209D04
	v_pk_fma_f32 v[6:7], v[6:7], s[78:79], v[8:9]              // 0000000074C4: D3B04006 1C209D06
	v_pk_mul_f32 v[4:5], v[4:5], v[100:101]                    // 0000000074CC: D3B14004 1802C904
	v_pk_mul_f32 v[6:7], v[6:7], v[102:103]                    // 0000000074D4: D3B14006 1802CD06
	v_pk_mul_f32 v[4:5], v[4:5], s[60:61]                      // 0000000074DC: D3B14004 18007904
	v_pk_mul_f32 v[6:7], v[6:7], s[60:61]                      // 0000000074E4: D3B14006 18007906
	v_exp_f32_e32 v4, v4                                       // 0000000074EC: 7E084104
	v_exp_f32_e32 v5, v5                                       // 0000000074F0: 7E0A4105
	v_exp_f32_e32 v6, v6                                       // 0000000074F4: 7E0C4106
	v_exp_f32_e32 v7, v7                                       // 0000000074F8: 7E0E4107
	v_add_f32_e64 v4, v4, 1.0                                  // 0000000074FC: D1010004 0001E504
	v_add_f32_e64 v5, v5, 1.0                                  // 000000007504: D1010005 0001E505
	v_add_f32_e64 v6, v6, 1.0                                  // 00000000750C: D1010006 0001E506
	v_add_f32_e64 v7, v7, 1.0                                  // 000000007514: D1010007 0001E507
	v_rcp_f32_e32 v4, v4                                       // 00000000751C: 7E084504
	v_rcp_f32_e32 v5, v5                                       // 000000007520: 7E0A4505
	v_rcp_f32_e32 v6, v6                                       // 000000007524: 7E0C4506
	v_rcp_f32_e32 v7, v7                                       // 000000007528: 7E0E4507
	v_mul_f32_e32 v100, v100, v4                               // 00000000752C: 0AC80964
	v_mul_f32_e32 v101, v101, v5                               // 000000007530: 0ACA0B65
	v_mul_f32_e32 v102, v102, v6                               // 000000007534: 0ACC0D66
	v_mul_f32_e32 v103, v103, v7                               // 000000007538: 0ACE0F67
	v_mul_f32_e32 v100, v100, v196                             // 00000000753C: 0AC98964
	v_mul_f32_e32 v101, v101, v197                             // 000000007540: 0ACB8B65
	v_mul_f32_e32 v102, v102, v198                             // 000000007544: 0ACD8D66
	v_mul_f32_e32 v103, v103, v199                             // 000000007548: 0ACF8F67
	v_pk_mul_f32 v[4:5], v[104:105], v[104:105]                // 00000000754C: D3B14004 1802D168
	v_pk_mul_f32 v[6:7], v[106:107], v[106:107]                // 000000007554: D3B14006 1802D56A
	v_pk_fma_f32 v[4:5], v[4:5], s[78:79], v[8:9]              // 00000000755C: D3B04004 1C209D04
	v_pk_fma_f32 v[6:7], v[6:7], s[78:79], v[8:9]              // 000000007564: D3B04006 1C209D06
	v_pk_mul_f32 v[4:5], v[4:5], v[104:105]                    // 00000000756C: D3B14004 1802D104
	v_pk_mul_f32 v[6:7], v[6:7], v[106:107]                    // 000000007574: D3B14006 1802D506
	v_pk_mul_f32 v[4:5], v[4:5], s[60:61]                      // 00000000757C: D3B14004 18007904
	v_pk_mul_f32 v[6:7], v[6:7], s[60:61]                      // 000000007584: D3B14006 18007906
	v_exp_f32_e32 v4, v4                                       // 00000000758C: 7E084104
	v_exp_f32_e32 v5, v5                                       // 000000007590: 7E0A4105
	v_exp_f32_e32 v6, v6                                       // 000000007594: 7E0C4106
	v_exp_f32_e32 v7, v7                                       // 000000007598: 7E0E4107
	v_add_f32_e64 v4, v4, 1.0                                  // 00000000759C: D1010004 0001E504
	v_add_f32_e64 v5, v5, 1.0                                  // 0000000075A4: D1010005 0001E505
	v_add_f32_e64 v6, v6, 1.0                                  // 0000000075AC: D1010006 0001E506
	v_add_f32_e64 v7, v7, 1.0                                  // 0000000075B4: D1010007 0001E507
	v_rcp_f32_e32 v4, v4                                       // 0000000075BC: 7E084504
	v_rcp_f32_e32 v5, v5                                       // 0000000075C0: 7E0A4505
	v_rcp_f32_e32 v6, v6                                       // 0000000075C4: 7E0C4506
	v_rcp_f32_e32 v7, v7                                       // 0000000075C8: 7E0E4507
	v_mul_f32_e32 v104, v104, v4                               // 0000000075CC: 0AD00968
	v_mul_f32_e32 v105, v105, v5                               // 0000000075D0: 0AD20B69
	v_mul_f32_e32 v106, v106, v6                               // 0000000075D4: 0AD40D6A
	v_mul_f32_e32 v107, v107, v7                               // 0000000075D8: 0AD60F6B
	v_mul_f32_e32 v104, v104, v200                             // 0000000075DC: 0AD19168
	v_mul_f32_e32 v105, v105, v201                             // 0000000075E0: 0AD39369
	v_mul_f32_e32 v106, v106, v202                             // 0000000075E4: 0AD5956A
	v_mul_f32_e32 v107, v107, v203                             // 0000000075E8: 0AD7976B
	v_pk_mul_f32 v[4:5], v[108:109], v[108:109]                // 0000000075EC: D3B14004 1802D96C
	v_pk_mul_f32 v[6:7], v[110:111], v[110:111]                // 0000000075F4: D3B14006 1802DD6E
	v_pk_fma_f32 v[4:5], v[4:5], s[78:79], v[8:9]              // 0000000075FC: D3B04004 1C209D04
	v_pk_fma_f32 v[6:7], v[6:7], s[78:79], v[8:9]              // 000000007604: D3B04006 1C209D06
	v_pk_mul_f32 v[4:5], v[4:5], v[108:109]                    // 00000000760C: D3B14004 1802D904
	v_pk_mul_f32 v[6:7], v[6:7], v[110:111]                    // 000000007614: D3B14006 1802DD06
	v_pk_mul_f32 v[4:5], v[4:5], s[60:61]                      // 00000000761C: D3B14004 18007904
	v_pk_mul_f32 v[6:7], v[6:7], s[60:61]                      // 000000007624: D3B14006 18007906
	v_exp_f32_e32 v4, v4                                       // 00000000762C: 7E084104
	v_exp_f32_e32 v5, v5                                       // 000000007630: 7E0A4105
	v_exp_f32_e32 v6, v6                                       // 000000007634: 7E0C4106
	v_exp_f32_e32 v7, v7                                       // 000000007638: 7E0E4107
	v_add_f32_e64 v4, v4, 1.0                                  // 00000000763C: D1010004 0001E504
	v_add_f32_e64 v5, v5, 1.0                                  // 000000007644: D1010005 0001E505
	v_add_f32_e64 v6, v6, 1.0                                  // 00000000764C: D1010006 0001E506
	v_add_f32_e64 v7, v7, 1.0                                  // 000000007654: D1010007 0001E507
	v_rcp_f32_e32 v4, v4                                       // 00000000765C: 7E084504
	v_rcp_f32_e32 v5, v5                                       // 000000007660: 7E0A4505
	v_rcp_f32_e32 v6, v6                                       // 000000007664: 7E0C4506
	v_rcp_f32_e32 v7, v7                                       // 000000007668: 7E0E4507
	v_mul_f32_e32 v108, v108, v4                               // 00000000766C: 0AD8096C
	v_mul_f32_e32 v109, v109, v5                               // 000000007670: 0ADA0B6D
	v_mul_f32_e32 v110, v110, v6                               // 000000007674: 0ADC0D6E
	v_mul_f32_e32 v111, v111, v7                               // 000000007678: 0ADE0F6F
	v_mul_f32_e32 v108, v108, v204                             // 00000000767C: 0AD9996C
	v_mul_f32_e32 v109, v109, v205                             // 000000007680: 0ADB9B6D
	v_mul_f32_e32 v110, v110, v206                             // 000000007684: 0ADD9D6E
	v_mul_f32_e32 v111, v111, v207                             // 000000007688: 0ADF9F6F
	v_pk_mul_f32 v[4:5], v[112:113], v[112:113]                // 00000000768C: D3B14004 1802E170
	v_pk_mul_f32 v[6:7], v[114:115], v[114:115]                // 000000007694: D3B14006 1802E572
	v_pk_fma_f32 v[4:5], v[4:5], s[78:79], v[8:9]              // 00000000769C: D3B04004 1C209D04
	v_pk_fma_f32 v[6:7], v[6:7], s[78:79], v[8:9]              // 0000000076A4: D3B04006 1C209D06
	v_pk_mul_f32 v[4:5], v[4:5], v[112:113]                    // 0000000076AC: D3B14004 1802E104
	v_pk_mul_f32 v[6:7], v[6:7], v[114:115]                    // 0000000076B4: D3B14006 1802E506
	v_pk_mul_f32 v[4:5], v[4:5], s[60:61]                      // 0000000076BC: D3B14004 18007904
	v_pk_mul_f32 v[6:7], v[6:7], s[60:61]                      // 0000000076C4: D3B14006 18007906
	v_exp_f32_e32 v4, v4                                       // 0000000076CC: 7E084104
	v_exp_f32_e32 v5, v5                                       // 0000000076D0: 7E0A4105
	v_exp_f32_e32 v6, v6                                       // 0000000076D4: 7E0C4106
	v_exp_f32_e32 v7, v7                                       // 0000000076D8: 7E0E4107
	v_add_f32_e64 v4, v4, 1.0                                  // 0000000076DC: D1010004 0001E504
	v_add_f32_e64 v5, v5, 1.0                                  // 0000000076E4: D1010005 0001E505
	v_add_f32_e64 v6, v6, 1.0                                  // 0000000076EC: D1010006 0001E506
	v_add_f32_e64 v7, v7, 1.0                                  // 0000000076F4: D1010007 0001E507
	v_rcp_f32_e32 v4, v4                                       // 0000000076FC: 7E084504
	v_rcp_f32_e32 v5, v5                                       // 000000007700: 7E0A4505
	v_rcp_f32_e32 v6, v6                                       // 000000007704: 7E0C4506
	v_rcp_f32_e32 v7, v7                                       // 000000007708: 7E0E4507
	v_mul_f32_e32 v112, v112, v4                               // 00000000770C: 0AE00970
	v_mul_f32_e32 v113, v113, v5                               // 000000007710: 0AE20B71
	v_mul_f32_e32 v114, v114, v6                               // 000000007714: 0AE40D72
	v_mul_f32_e32 v115, v115, v7                               // 000000007718: 0AE60F73
	v_mul_f32_e32 v112, v112, v208                             // 00000000771C: 0AE1A170
	v_mul_f32_e32 v113, v113, v209                             // 000000007720: 0AE3A371
	v_mul_f32_e32 v114, v114, v210                             // 000000007724: 0AE5A572
	v_mul_f32_e32 v115, v115, v211                             // 000000007728: 0AE7A773
	v_pk_mul_f32 v[4:5], v[116:117], v[116:117]                // 00000000772C: D3B14004 1802E974
	v_pk_mul_f32 v[6:7], v[118:119], v[118:119]                // 000000007734: D3B14006 1802ED76
	v_pk_fma_f32 v[4:5], v[4:5], s[78:79], v[8:9]              // 00000000773C: D3B04004 1C209D04
	v_pk_fma_f32 v[6:7], v[6:7], s[78:79], v[8:9]              // 000000007744: D3B04006 1C209D06
	v_pk_mul_f32 v[4:5], v[4:5], v[116:117]                    // 00000000774C: D3B14004 1802E904
	v_pk_mul_f32 v[6:7], v[6:7], v[118:119]                    // 000000007754: D3B14006 1802ED06
	v_pk_mul_f32 v[4:5], v[4:5], s[60:61]                      // 00000000775C: D3B14004 18007904
	v_pk_mul_f32 v[6:7], v[6:7], s[60:61]                      // 000000007764: D3B14006 18007906
	v_exp_f32_e32 v4, v4                                       // 00000000776C: 7E084104
	v_exp_f32_e32 v5, v5                                       // 000000007770: 7E0A4105
	v_exp_f32_e32 v6, v6                                       // 000000007774: 7E0C4106
	v_exp_f32_e32 v7, v7                                       // 000000007778: 7E0E4107
	v_add_f32_e64 v4, v4, 1.0                                  // 00000000777C: D1010004 0001E504
	v_add_f32_e64 v5, v5, 1.0                                  // 000000007784: D1010005 0001E505
	v_add_f32_e64 v6, v6, 1.0                                  // 00000000778C: D1010006 0001E506
	v_add_f32_e64 v7, v7, 1.0                                  // 000000007794: D1010007 0001E507
	v_rcp_f32_e32 v4, v4                                       // 00000000779C: 7E084504
	v_rcp_f32_e32 v5, v5                                       // 0000000077A0: 7E0A4505
	v_rcp_f32_e32 v6, v6                                       // 0000000077A4: 7E0C4506
	v_rcp_f32_e32 v7, v7                                       // 0000000077A8: 7E0E4507
	v_mul_f32_e32 v116, v116, v4                               // 0000000077AC: 0AE80974
	v_mul_f32_e32 v117, v117, v5                               // 0000000077B0: 0AEA0B75
	v_mul_f32_e32 v118, v118, v6                               // 0000000077B4: 0AEC0D76
	v_mul_f32_e32 v119, v119, v7                               // 0000000077B8: 0AEE0F77
	v_mul_f32_e32 v116, v116, v212                             // 0000000077BC: 0AE9A974
	v_mul_f32_e32 v117, v117, v213                             // 0000000077C0: 0AEBAB75
	v_mul_f32_e32 v118, v118, v214                             // 0000000077C4: 0AEDAD76
	v_mul_f32_e32 v119, v119, v215                             // 0000000077C8: 0AEFAF77
	v_pk_mul_f32 v[4:5], v[120:121], v[120:121]                // 0000000077CC: D3B14004 1802F178
	v_pk_mul_f32 v[6:7], v[122:123], v[122:123]                // 0000000077D4: D3B14006 1802F57A
	v_pk_fma_f32 v[4:5], v[4:5], s[78:79], v[8:9]              // 0000000077DC: D3B04004 1C209D04
	v_pk_fma_f32 v[6:7], v[6:7], s[78:79], v[8:9]              // 0000000077E4: D3B04006 1C209D06
	v_pk_mul_f32 v[4:5], v[4:5], v[120:121]                    // 0000000077EC: D3B14004 1802F104
	v_pk_mul_f32 v[6:7], v[6:7], v[122:123]                    // 0000000077F4: D3B14006 1802F506
	v_pk_mul_f32 v[4:5], v[4:5], s[60:61]                      // 0000000077FC: D3B14004 18007904
	v_pk_mul_f32 v[6:7], v[6:7], s[60:61]                      // 000000007804: D3B14006 18007906
	v_exp_f32_e32 v4, v4                                       // 00000000780C: 7E084104
	v_exp_f32_e32 v5, v5                                       // 000000007810: 7E0A4105
	v_exp_f32_e32 v6, v6                                       // 000000007814: 7E0C4106
	v_exp_f32_e32 v7, v7                                       // 000000007818: 7E0E4107
	v_add_f32_e64 v4, v4, 1.0                                  // 00000000781C: D1010004 0001E504
	v_add_f32_e64 v5, v5, 1.0                                  // 000000007824: D1010005 0001E505
	v_add_f32_e64 v6, v6, 1.0                                  // 00000000782C: D1010006 0001E506
	v_add_f32_e64 v7, v7, 1.0                                  // 000000007834: D1010007 0001E507
	v_rcp_f32_e32 v4, v4                                       // 00000000783C: 7E084504
	v_rcp_f32_e32 v5, v5                                       // 000000007840: 7E0A4505
	v_rcp_f32_e32 v6, v6                                       // 000000007844: 7E0C4506
	v_rcp_f32_e32 v7, v7                                       // 000000007848: 7E0E4507
	v_mul_f32_e32 v120, v120, v4                               // 00000000784C: 0AF00978
	v_mul_f32_e32 v121, v121, v5                               // 000000007850: 0AF20B79
	v_mul_f32_e32 v122, v122, v6                               // 000000007854: 0AF40D7A
	v_mul_f32_e32 v123, v123, v7                               // 000000007858: 0AF60F7B
	v_mul_f32_e32 v120, v120, v216                             // 00000000785C: 0AF1B178
	v_mul_f32_e32 v121, v121, v217                             // 000000007860: 0AF3B379
	v_mul_f32_e32 v122, v122, v218                             // 000000007864: 0AF5B57A
	v_mul_f32_e32 v123, v123, v219                             // 000000007868: 0AF7B77B
	v_pk_mul_f32 v[4:5], v[124:125], v[124:125]                // 00000000786C: D3B14004 1802F97C
	v_pk_mul_f32 v[6:7], v[126:127], v[126:127]                // 000000007874: D3B14006 1802FD7E
	v_pk_fma_f32 v[4:5], v[4:5], s[78:79], v[8:9]              // 00000000787C: D3B04004 1C209D04
	v_pk_fma_f32 v[6:7], v[6:7], s[78:79], v[8:9]              // 000000007884: D3B04006 1C209D06
	v_pk_mul_f32 v[4:5], v[4:5], v[124:125]                    // 00000000788C: D3B14004 1802F904
	v_pk_mul_f32 v[6:7], v[6:7], v[126:127]                    // 000000007894: D3B14006 1802FD06
	v_pk_mul_f32 v[4:5], v[4:5], s[60:61]                      // 00000000789C: D3B14004 18007904
	v_pk_mul_f32 v[6:7], v[6:7], s[60:61]                      // 0000000078A4: D3B14006 18007906
	v_exp_f32_e32 v4, v4                                       // 0000000078AC: 7E084104
	v_exp_f32_e32 v5, v5                                       // 0000000078B0: 7E0A4105
	v_exp_f32_e32 v6, v6                                       // 0000000078B4: 7E0C4106
	v_exp_f32_e32 v7, v7                                       // 0000000078B8: 7E0E4107
	v_add_f32_e64 v4, v4, 1.0                                  // 0000000078BC: D1010004 0001E504
	v_add_f32_e64 v5, v5, 1.0                                  // 0000000078C4: D1010005 0001E505
	v_add_f32_e64 v6, v6, 1.0                                  // 0000000078CC: D1010006 0001E506
	v_add_f32_e64 v7, v7, 1.0                                  // 0000000078D4: D1010007 0001E507
	v_rcp_f32_e32 v4, v4                                       // 0000000078DC: 7E084504
	v_rcp_f32_e32 v5, v5                                       // 0000000078E0: 7E0A4505
	v_rcp_f32_e32 v6, v6                                       // 0000000078E4: 7E0C4506
	v_rcp_f32_e32 v7, v7                                       // 0000000078E8: 7E0E4507
	v_mul_f32_e32 v124, v124, v4                               // 0000000078EC: 0AF8097C
	v_mul_f32_e32 v125, v125, v5                               // 0000000078F0: 0AFA0B7D
	v_mul_f32_e32 v126, v126, v6                               // 0000000078F4: 0AFC0D7E
	v_mul_f32_e32 v127, v127, v7                               // 0000000078F8: 0AFE0F7F
	v_mul_f32_e32 v124, v124, v220                             // 0000000078FC: 0AF9B97C
	v_mul_f32_e32 v125, v125, v221                             // 000000007900: 0AFBBB7D
	v_mul_f32_e32 v126, v126, v222                             // 000000007904: 0AFDBD7E
	v_mul_f32_e32 v127, v127, v223                             // 000000007908: 0AFFBF7F
	v_pk_mul_f32 v[4:5], v[128:129], v[128:129]                // 00000000790C: D3B14004 18030180
	v_pk_mul_f32 v[6:7], v[130:131], v[130:131]                // 000000007914: D3B14006 18030582
	v_pk_fma_f32 v[4:5], v[4:5], s[78:79], v[8:9]              // 00000000791C: D3B04004 1C209D04
	v_pk_fma_f32 v[6:7], v[6:7], s[78:79], v[8:9]              // 000000007924: D3B04006 1C209D06
	v_pk_mul_f32 v[4:5], v[4:5], v[128:129]                    // 00000000792C: D3B14004 18030104
	v_pk_mul_f32 v[6:7], v[6:7], v[130:131]                    // 000000007934: D3B14006 18030506
	v_pk_mul_f32 v[4:5], v[4:5], s[60:61]                      // 00000000793C: D3B14004 18007904
	v_pk_mul_f32 v[6:7], v[6:7], s[60:61]                      // 000000007944: D3B14006 18007906
	v_exp_f32_e32 v4, v4                                       // 00000000794C: 7E084104
	v_exp_f32_e32 v5, v5                                       // 000000007950: 7E0A4105
	v_exp_f32_e32 v6, v6                                       // 000000007954: 7E0C4106
	v_exp_f32_e32 v7, v7                                       // 000000007958: 7E0E4107
	v_add_f32_e64 v4, v4, 1.0                                  // 00000000795C: D1010004 0001E504
	v_add_f32_e64 v5, v5, 1.0                                  // 000000007964: D1010005 0001E505
	v_add_f32_e64 v6, v6, 1.0                                  // 00000000796C: D1010006 0001E506
	v_add_f32_e64 v7, v7, 1.0                                  // 000000007974: D1010007 0001E507
	v_rcp_f32_e32 v4, v4                                       // 00000000797C: 7E084504
	v_rcp_f32_e32 v5, v5                                       // 000000007980: 7E0A4505
	v_rcp_f32_e32 v6, v6                                       // 000000007984: 7E0C4506
	v_rcp_f32_e32 v7, v7                                       // 000000007988: 7E0E4507
	v_mul_f32_e32 v128, v128, v4                               // 00000000798C: 0B000980
	v_mul_f32_e32 v129, v129, v5                               // 000000007990: 0B020B81
	v_mul_f32_e32 v130, v130, v6                               // 000000007994: 0B040D82
	v_mul_f32_e32 v131, v131, v7                               // 000000007998: 0B060F83
	v_mul_f32_e32 v128, v128, v224                             // 00000000799C: 0B01C180
	v_mul_f32_e32 v129, v129, v225                             // 0000000079A0: 0B03C381
	v_mul_f32_e32 v130, v130, v226                             // 0000000079A4: 0B05C582
	v_mul_f32_e32 v131, v131, v227                             // 0000000079A8: 0B07C783
	v_pk_mul_f32 v[4:5], v[132:133], v[132:133]                // 0000000079AC: D3B14004 18030984
	v_pk_mul_f32 v[6:7], v[134:135], v[134:135]                // 0000000079B4: D3B14006 18030D86
	v_pk_fma_f32 v[4:5], v[4:5], s[78:79], v[8:9]              // 0000000079BC: D3B04004 1C209D04
	v_pk_fma_f32 v[6:7], v[6:7], s[78:79], v[8:9]              // 0000000079C4: D3B04006 1C209D06
	v_pk_mul_f32 v[4:5], v[4:5], v[132:133]                    // 0000000079CC: D3B14004 18030904
	v_pk_mul_f32 v[6:7], v[6:7], v[134:135]                    // 0000000079D4: D3B14006 18030D06
	v_pk_mul_f32 v[4:5], v[4:5], s[60:61]                      // 0000000079DC: D3B14004 18007904
	v_pk_mul_f32 v[6:7], v[6:7], s[60:61]                      // 0000000079E4: D3B14006 18007906
	v_exp_f32_e32 v4, v4                                       // 0000000079EC: 7E084104
	v_exp_f32_e32 v5, v5                                       // 0000000079F0: 7E0A4105
	v_exp_f32_e32 v6, v6                                       // 0000000079F4: 7E0C4106
	v_exp_f32_e32 v7, v7                                       // 0000000079F8: 7E0E4107
	v_add_f32_e64 v4, v4, 1.0                                  // 0000000079FC: D1010004 0001E504
	v_add_f32_e64 v5, v5, 1.0                                  // 000000007A04: D1010005 0001E505
	v_add_f32_e64 v6, v6, 1.0                                  // 000000007A0C: D1010006 0001E506
	v_add_f32_e64 v7, v7, 1.0                                  // 000000007A14: D1010007 0001E507
	v_rcp_f32_e32 v4, v4                                       // 000000007A1C: 7E084504
	v_rcp_f32_e32 v5, v5                                       // 000000007A20: 7E0A4505
	v_rcp_f32_e32 v6, v6                                       // 000000007A24: 7E0C4506
	v_rcp_f32_e32 v7, v7                                       // 000000007A28: 7E0E4507
	v_mul_f32_e32 v132, v132, v4                               // 000000007A2C: 0B080984
	v_mul_f32_e32 v133, v133, v5                               // 000000007A30: 0B0A0B85
	v_mul_f32_e32 v134, v134, v6                               // 000000007A34: 0B0C0D86
	v_mul_f32_e32 v135, v135, v7                               // 000000007A38: 0B0E0F87
	v_mul_f32_e32 v132, v132, v228                             // 000000007A3C: 0B09C984
	v_mul_f32_e32 v133, v133, v229                             // 000000007A40: 0B0BCB85
	v_mul_f32_e32 v134, v134, v230                             // 000000007A44: 0B0DCD86
	v_mul_f32_e32 v135, v135, v231                             // 000000007A48: 0B0FCF87
	v_pk_mul_f32 v[4:5], v[136:137], v[136:137]                // 000000007A4C: D3B14004 18031188
	v_pk_mul_f32 v[6:7], v[138:139], v[138:139]                // 000000007A54: D3B14006 1803158A
	v_pk_fma_f32 v[4:5], v[4:5], s[78:79], v[8:9]              // 000000007A5C: D3B04004 1C209D04
	v_pk_fma_f32 v[6:7], v[6:7], s[78:79], v[8:9]              // 000000007A64: D3B04006 1C209D06
	v_pk_mul_f32 v[4:5], v[4:5], v[136:137]                    // 000000007A6C: D3B14004 18031104
	v_pk_mul_f32 v[6:7], v[6:7], v[138:139]                    // 000000007A74: D3B14006 18031506
	v_pk_mul_f32 v[4:5], v[4:5], s[60:61]                      // 000000007A7C: D3B14004 18007904
	v_pk_mul_f32 v[6:7], v[6:7], s[60:61]                      // 000000007A84: D3B14006 18007906
	v_exp_f32_e32 v4, v4                                       // 000000007A8C: 7E084104
	v_exp_f32_e32 v5, v5                                       // 000000007A90: 7E0A4105
	v_exp_f32_e32 v6, v6                                       // 000000007A94: 7E0C4106
	v_exp_f32_e32 v7, v7                                       // 000000007A98: 7E0E4107
	v_add_f32_e64 v4, v4, 1.0                                  // 000000007A9C: D1010004 0001E504
	v_add_f32_e64 v5, v5, 1.0                                  // 000000007AA4: D1010005 0001E505
	v_add_f32_e64 v6, v6, 1.0                                  // 000000007AAC: D1010006 0001E506
	v_add_f32_e64 v7, v7, 1.0                                  // 000000007AB4: D1010007 0001E507
	v_rcp_f32_e32 v4, v4                                       // 000000007ABC: 7E084504
	v_rcp_f32_e32 v5, v5                                       // 000000007AC0: 7E0A4505
	v_rcp_f32_e32 v6, v6                                       // 000000007AC4: 7E0C4506
	v_rcp_f32_e32 v7, v7                                       // 000000007AC8: 7E0E4507
	v_mul_f32_e32 v136, v136, v4                               // 000000007ACC: 0B100988
	v_mul_f32_e32 v137, v137, v5                               // 000000007AD0: 0B120B89
	v_mul_f32_e32 v138, v138, v6                               // 000000007AD4: 0B140D8A
	v_mul_f32_e32 v139, v139, v7                               // 000000007AD8: 0B160F8B
	v_mul_f32_e32 v136, v136, v232                             // 000000007ADC: 0B11D188
	v_mul_f32_e32 v137, v137, v233                             // 000000007AE0: 0B13D389
	v_mul_f32_e32 v138, v138, v234                             // 000000007AE4: 0B15D58A
	v_mul_f32_e32 v139, v139, v235                             // 000000007AE8: 0B17D78B
	v_pk_mul_f32 v[4:5], v[140:141], v[140:141]                // 000000007AEC: D3B14004 1803198C
	v_pk_mul_f32 v[6:7], v[142:143], v[142:143]                // 000000007AF4: D3B14006 18031D8E
	v_pk_fma_f32 v[4:5], v[4:5], s[78:79], v[8:9]              // 000000007AFC: D3B04004 1C209D04
	v_pk_fma_f32 v[6:7], v[6:7], s[78:79], v[8:9]              // 000000007B04: D3B04006 1C209D06
	v_pk_mul_f32 v[4:5], v[4:5], v[140:141]                    // 000000007B0C: D3B14004 18031904
	v_pk_mul_f32 v[6:7], v[6:7], v[142:143]                    // 000000007B14: D3B14006 18031D06
	v_pk_mul_f32 v[4:5], v[4:5], s[60:61]                      // 000000007B1C: D3B14004 18007904
	v_pk_mul_f32 v[6:7], v[6:7], s[60:61]                      // 000000007B24: D3B14006 18007906
	v_exp_f32_e32 v4, v4                                       // 000000007B2C: 7E084104
	v_exp_f32_e32 v5, v5                                       // 000000007B30: 7E0A4105
	v_exp_f32_e32 v6, v6                                       // 000000007B34: 7E0C4106
	v_exp_f32_e32 v7, v7                                       // 000000007B38: 7E0E4107
	v_add_f32_e64 v4, v4, 1.0                                  // 000000007B3C: D1010004 0001E504
	v_add_f32_e64 v5, v5, 1.0                                  // 000000007B44: D1010005 0001E505
	v_add_f32_e64 v6, v6, 1.0                                  // 000000007B4C: D1010006 0001E506
	v_add_f32_e64 v7, v7, 1.0                                  // 000000007B54: D1010007 0001E507
	v_rcp_f32_e32 v4, v4                                       // 000000007B5C: 7E084504
	v_rcp_f32_e32 v5, v5                                       // 000000007B60: 7E0A4505
	v_rcp_f32_e32 v6, v6                                       // 000000007B64: 7E0C4506
	v_rcp_f32_e32 v7, v7                                       // 000000007B68: 7E0E4507
	v_mul_f32_e32 v140, v140, v4                               // 000000007B6C: 0B18098C
	v_mul_f32_e32 v141, v141, v5                               // 000000007B70: 0B1A0B8D
	v_mul_f32_e32 v142, v142, v6                               // 000000007B74: 0B1C0D8E
	v_mul_f32_e32 v143, v143, v7                               // 000000007B78: 0B1E0F8F
	v_mul_f32_e32 v140, v140, v236                             // 000000007B7C: 0B19D98C
	v_mul_f32_e32 v141, v141, v237                             // 000000007B80: 0B1BDB8D
	v_mul_f32_e32 v142, v142, v238                             // 000000007B84: 0B1DDD8E
	v_mul_f32_e32 v143, v143, v239                             // 000000007B88: 0B1FDF8F
	v_pk_mul_f32 v[4:5], v[144:145], v[144:145]                // 000000007B8C: D3B14004 18032190
	v_pk_mul_f32 v[6:7], v[146:147], v[146:147]                // 000000007B94: D3B14006 18032592
	v_pk_fma_f32 v[4:5], v[4:5], s[78:79], v[8:9]              // 000000007B9C: D3B04004 1C209D04
	v_pk_fma_f32 v[6:7], v[6:7], s[78:79], v[8:9]              // 000000007BA4: D3B04006 1C209D06
	v_pk_mul_f32 v[4:5], v[4:5], v[144:145]                    // 000000007BAC: D3B14004 18032104
	v_pk_mul_f32 v[6:7], v[6:7], v[146:147]                    // 000000007BB4: D3B14006 18032506
	v_pk_mul_f32 v[4:5], v[4:5], s[60:61]                      // 000000007BBC: D3B14004 18007904
	v_pk_mul_f32 v[6:7], v[6:7], s[60:61]                      // 000000007BC4: D3B14006 18007906
	v_exp_f32_e32 v4, v4                                       // 000000007BCC: 7E084104
	v_exp_f32_e32 v5, v5                                       // 000000007BD0: 7E0A4105
	v_exp_f32_e32 v6, v6                                       // 000000007BD4: 7E0C4106
	v_exp_f32_e32 v7, v7                                       // 000000007BD8: 7E0E4107
	v_add_f32_e64 v4, v4, 1.0                                  // 000000007BDC: D1010004 0001E504
	v_add_f32_e64 v5, v5, 1.0                                  // 000000007BE4: D1010005 0001E505
	v_add_f32_e64 v6, v6, 1.0                                  // 000000007BEC: D1010006 0001E506
	v_add_f32_e64 v7, v7, 1.0                                  // 000000007BF4: D1010007 0001E507
	v_rcp_f32_e32 v4, v4                                       // 000000007BFC: 7E084504
	v_rcp_f32_e32 v5, v5                                       // 000000007C00: 7E0A4505
	v_rcp_f32_e32 v6, v6                                       // 000000007C04: 7E0C4506
	v_rcp_f32_e32 v7, v7                                       // 000000007C08: 7E0E4507
	v_mul_f32_e32 v144, v144, v4                               // 000000007C0C: 0B200990
	v_mul_f32_e32 v145, v145, v5                               // 000000007C10: 0B220B91
	v_mul_f32_e32 v146, v146, v6                               // 000000007C14: 0B240D92
	v_mul_f32_e32 v147, v147, v7                               // 000000007C18: 0B260F93
	v_mul_f32_e32 v144, v144, v240                             // 000000007C1C: 0B21E190
	v_mul_f32_e32 v145, v145, v241                             // 000000007C20: 0B23E391
	v_mul_f32_e32 v146, v146, v242                             // 000000007C24: 0B25E592
	v_mul_f32_e32 v147, v147, v243                             // 000000007C28: 0B27E793
	v_pk_mul_f32 v[4:5], v[148:149], v[148:149]                // 000000007C2C: D3B14004 18032994
	v_pk_mul_f32 v[6:7], v[150:151], v[150:151]                // 000000007C34: D3B14006 18032D96
	v_pk_fma_f32 v[4:5], v[4:5], s[78:79], v[8:9]              // 000000007C3C: D3B04004 1C209D04
	v_pk_fma_f32 v[6:7], v[6:7], s[78:79], v[8:9]              // 000000007C44: D3B04006 1C209D06
	v_pk_mul_f32 v[4:5], v[4:5], v[148:149]                    // 000000007C4C: D3B14004 18032904
	v_pk_mul_f32 v[6:7], v[6:7], v[150:151]                    // 000000007C54: D3B14006 18032D06
	v_pk_mul_f32 v[4:5], v[4:5], s[60:61]                      // 000000007C5C: D3B14004 18007904
	v_pk_mul_f32 v[6:7], v[6:7], s[60:61]                      // 000000007C64: D3B14006 18007906
	v_exp_f32_e32 v4, v4                                       // 000000007C6C: 7E084104
	v_exp_f32_e32 v5, v5                                       // 000000007C70: 7E0A4105
	v_exp_f32_e32 v6, v6                                       // 000000007C74: 7E0C4106
	v_exp_f32_e32 v7, v7                                       // 000000007C78: 7E0E4107
	v_add_f32_e64 v4, v4, 1.0                                  // 000000007C7C: D1010004 0001E504
	v_add_f32_e64 v5, v5, 1.0                                  // 000000007C84: D1010005 0001E505
	v_add_f32_e64 v6, v6, 1.0                                  // 000000007C8C: D1010006 0001E506
	v_add_f32_e64 v7, v7, 1.0                                  // 000000007C94: D1010007 0001E507
	v_rcp_f32_e32 v4, v4                                       // 000000007C9C: 7E084504
	v_rcp_f32_e32 v5, v5                                       // 000000007CA0: 7E0A4505
	v_rcp_f32_e32 v6, v6                                       // 000000007CA4: 7E0C4506
	v_rcp_f32_e32 v7, v7                                       // 000000007CA8: 7E0E4507
	v_mul_f32_e32 v148, v148, v4                               // 000000007CAC: 0B280994
	v_mul_f32_e32 v149, v149, v5                               // 000000007CB0: 0B2A0B95
	v_mul_f32_e32 v150, v150, v6                               // 000000007CB4: 0B2C0D96
	v_mul_f32_e32 v151, v151, v7                               // 000000007CB8: 0B2E0F97
	v_mul_f32_e32 v148, v148, v244                             // 000000007CBC: 0B29E994
	v_mul_f32_e32 v149, v149, v245                             // 000000007CC0: 0B2BEB95
	v_mul_f32_e32 v150, v150, v246                             // 000000007CC4: 0B2DED96
	v_mul_f32_e32 v151, v151, v247                             // 000000007CC8: 0B2FEF97
	v_pk_mul_f32 v[4:5], v[152:153], v[152:153]                // 000000007CCC: D3B14004 18033198
	v_pk_mul_f32 v[6:7], v[154:155], v[154:155]                // 000000007CD4: D3B14006 1803359A
	v_pk_fma_f32 v[4:5], v[4:5], s[78:79], v[8:9]              // 000000007CDC: D3B04004 1C209D04
	v_pk_fma_f32 v[6:7], v[6:7], s[78:79], v[8:9]              // 000000007CE4: D3B04006 1C209D06
	v_pk_mul_f32 v[4:5], v[4:5], v[152:153]                    // 000000007CEC: D3B14004 18033104
	v_pk_mul_f32 v[6:7], v[6:7], v[154:155]                    // 000000007CF4: D3B14006 18033506
	v_pk_mul_f32 v[4:5], v[4:5], s[60:61]                      // 000000007CFC: D3B14004 18007904
	v_pk_mul_f32 v[6:7], v[6:7], s[60:61]                      // 000000007D04: D3B14006 18007906
	v_exp_f32_e32 v4, v4                                       // 000000007D0C: 7E084104
	v_exp_f32_e32 v5, v5                                       // 000000007D10: 7E0A4105
	v_exp_f32_e32 v6, v6                                       // 000000007D14: 7E0C4106
	v_exp_f32_e32 v7, v7                                       // 000000007D18: 7E0E4107
	v_add_f32_e64 v4, v4, 1.0                                  // 000000007D1C: D1010004 0001E504
	v_add_f32_e64 v5, v5, 1.0                                  // 000000007D24: D1010005 0001E505
	v_add_f32_e64 v6, v6, 1.0                                  // 000000007D2C: D1010006 0001E506
	v_add_f32_e64 v7, v7, 1.0                                  // 000000007D34: D1010007 0001E507
	v_rcp_f32_e32 v4, v4                                       // 000000007D3C: 7E084504
	v_rcp_f32_e32 v5, v5                                       // 000000007D40: 7E0A4505
	v_rcp_f32_e32 v6, v6                                       // 000000007D44: 7E0C4506
	v_rcp_f32_e32 v7, v7                                       // 000000007D48: 7E0E4507
	v_mul_f32_e32 v152, v152, v4                               // 000000007D4C: 0B300998
	v_mul_f32_e32 v153, v153, v5                               // 000000007D50: 0B320B99
	v_mul_f32_e32 v154, v154, v6                               // 000000007D54: 0B340D9A
	v_mul_f32_e32 v155, v155, v7                               // 000000007D58: 0B360F9B
	v_mul_f32_e32 v152, v152, v248                             // 000000007D5C: 0B31F198
	v_mul_f32_e32 v153, v153, v249                             // 000000007D60: 0B33F399
	v_mul_f32_e32 v154, v154, v250                             // 000000007D64: 0B35F59A
	v_mul_f32_e32 v155, v155, v251                             // 000000007D68: 0B37F79B
	s_branch label_17DC                                        // 000000007D6C: BF820300

0000000000007d70 <label_14DC>:
	v_mul_f32_e64 v4, -v60, s6                                 // 000000007D70: D1050004 20000D3C
	v_mul_f32_e64 v5, -v61, s6                                 // 000000007D78: D1050005 20000D3D
	v_mul_f32_e64 v6, -v62, s6                                 // 000000007D80: D1050006 20000D3E
	v_mul_f32_e64 v7, -v63, s6                                 // 000000007D88: D1050007 20000D3F
	v_exp_f32_e32 v4, v4                                       // 000000007D90: 7E084104
	v_exp_f32_e32 v5, v5                                       // 000000007D94: 7E0A4105
	v_exp_f32_e32 v6, v6                                       // 000000007D98: 7E0C4106
	v_exp_f32_e32 v7, v7                                       // 000000007D9C: 7E0E4107
	v_add_f32_e64 v4, v4, 1.0                                  // 000000007DA0: D1010004 0001E504
	v_add_f32_e64 v5, v5, 1.0                                  // 000000007DA8: D1010005 0001E505
	v_add_f32_e64 v6, v6, 1.0                                  // 000000007DB0: D1010006 0001E506
	v_add_f32_e64 v7, v7, 1.0                                  // 000000007DB8: D1010007 0001E507
	v_rcp_f32_e32 v4, v4                                       // 000000007DC0: 7E084504
	v_rcp_f32_e32 v5, v5                                       // 000000007DC4: 7E0A4505
	v_rcp_f32_e32 v6, v6                                       // 000000007DC8: 7E0C4506
	v_rcp_f32_e32 v7, v7                                       // 000000007DCC: 7E0E4507
	v_mul_f32_e32 v60, v60, v4                                 // 000000007DD0: 0A78093C
	v_mul_f32_e32 v61, v61, v5                                 // 000000007DD4: 0A7A0B3D
	v_mul_f32_e32 v62, v62, v6                                 // 000000007DD8: 0A7C0D3E
	v_mul_f32_e32 v63, v63, v7                                 // 000000007DDC: 0A7E0F3F
	v_mul_f32_e32 v60, v60, v156                               // 000000007DE0: 0A79393C
	v_mul_f32_e32 v61, v61, v157                               // 000000007DE4: 0A7B3B3D
	v_mul_f32_e32 v62, v62, v158                               // 000000007DE8: 0A7D3D3E
	v_mul_f32_e32 v63, v63, v159                               // 000000007DEC: 0A7F3F3F
	v_mul_f32_e64 v4, -v64, s6                                 // 000000007DF0: D1050004 20000D40
	v_mul_f32_e64 v5, -v65, s6                                 // 000000007DF8: D1050005 20000D41
	v_mul_f32_e64 v6, -v66, s6                                 // 000000007E00: D1050006 20000D42
	v_mul_f32_e64 v7, -v67, s6                                 // 000000007E08: D1050007 20000D43
	v_exp_f32_e32 v4, v4                                       // 000000007E10: 7E084104
	v_exp_f32_e32 v5, v5                                       // 000000007E14: 7E0A4105
	v_exp_f32_e32 v6, v6                                       // 000000007E18: 7E0C4106
	v_exp_f32_e32 v7, v7                                       // 000000007E1C: 7E0E4107
	v_add_f32_e64 v4, v4, 1.0                                  // 000000007E20: D1010004 0001E504
	v_add_f32_e64 v5, v5, 1.0                                  // 000000007E28: D1010005 0001E505
	v_add_f32_e64 v6, v6, 1.0                                  // 000000007E30: D1010006 0001E506
	v_add_f32_e64 v7, v7, 1.0                                  // 000000007E38: D1010007 0001E507
	v_rcp_f32_e32 v4, v4                                       // 000000007E40: 7E084504
	v_rcp_f32_e32 v5, v5                                       // 000000007E44: 7E0A4505
	v_rcp_f32_e32 v6, v6                                       // 000000007E48: 7E0C4506
	v_rcp_f32_e32 v7, v7                                       // 000000007E4C: 7E0E4507
	v_mul_f32_e32 v64, v64, v4                                 // 000000007E50: 0A800940
	v_mul_f32_e32 v65, v65, v5                                 // 000000007E54: 0A820B41
	v_mul_f32_e32 v66, v66, v6                                 // 000000007E58: 0A840D42
	v_mul_f32_e32 v67, v67, v7                                 // 000000007E5C: 0A860F43
	v_mul_f32_e32 v64, v64, v160                               // 000000007E60: 0A814140
	v_mul_f32_e32 v65, v65, v161                               // 000000007E64: 0A834341
	v_mul_f32_e32 v66, v66, v162                               // 000000007E68: 0A854542
	v_mul_f32_e32 v67, v67, v163                               // 000000007E6C: 0A874743
	v_mul_f32_e64 v4, -v68, s6                                 // 000000007E70: D1050004 20000D44
	v_mul_f32_e64 v5, -v69, s6                                 // 000000007E78: D1050005 20000D45
	v_mul_f32_e64 v6, -v70, s6                                 // 000000007E80: D1050006 20000D46
	v_mul_f32_e64 v7, -v71, s6                                 // 000000007E88: D1050007 20000D47
	v_exp_f32_e32 v4, v4                                       // 000000007E90: 7E084104
	v_exp_f32_e32 v5, v5                                       // 000000007E94: 7E0A4105
	v_exp_f32_e32 v6, v6                                       // 000000007E98: 7E0C4106
	v_exp_f32_e32 v7, v7                                       // 000000007E9C: 7E0E4107
	v_add_f32_e64 v4, v4, 1.0                                  // 000000007EA0: D1010004 0001E504
	v_add_f32_e64 v5, v5, 1.0                                  // 000000007EA8: D1010005 0001E505
	v_add_f32_e64 v6, v6, 1.0                                  // 000000007EB0: D1010006 0001E506
	v_add_f32_e64 v7, v7, 1.0                                  // 000000007EB8: D1010007 0001E507
	v_rcp_f32_e32 v4, v4                                       // 000000007EC0: 7E084504
	v_rcp_f32_e32 v5, v5                                       // 000000007EC4: 7E0A4505
	v_rcp_f32_e32 v6, v6                                       // 000000007EC8: 7E0C4506
	v_rcp_f32_e32 v7, v7                                       // 000000007ECC: 7E0E4507
	v_mul_f32_e32 v68, v68, v4                                 // 000000007ED0: 0A880944
	v_mul_f32_e32 v69, v69, v5                                 // 000000007ED4: 0A8A0B45
	v_mul_f32_e32 v70, v70, v6                                 // 000000007ED8: 0A8C0D46
	v_mul_f32_e32 v71, v71, v7                                 // 000000007EDC: 0A8E0F47
	v_mul_f32_e32 v68, v68, v164                               // 000000007EE0: 0A894944
	v_mul_f32_e32 v69, v69, v165                               // 000000007EE4: 0A8B4B45
	v_mul_f32_e32 v70, v70, v166                               // 000000007EE8: 0A8D4D46
	v_mul_f32_e32 v71, v71, v167                               // 000000007EEC: 0A8F4F47
	v_mul_f32_e64 v4, -v72, s6                                 // 000000007EF0: D1050004 20000D48
	v_mul_f32_e64 v5, -v73, s6                                 // 000000007EF8: D1050005 20000D49
	v_mul_f32_e64 v6, -v74, s6                                 // 000000007F00: D1050006 20000D4A
	v_mul_f32_e64 v7, -v75, s6                                 // 000000007F08: D1050007 20000D4B
	v_exp_f32_e32 v4, v4                                       // 000000007F10: 7E084104
	v_exp_f32_e32 v5, v5                                       // 000000007F14: 7E0A4105
	v_exp_f32_e32 v6, v6                                       // 000000007F18: 7E0C4106
	v_exp_f32_e32 v7, v7                                       // 000000007F1C: 7E0E4107
	v_add_f32_e64 v4, v4, 1.0                                  // 000000007F20: D1010004 0001E504
	v_add_f32_e64 v5, v5, 1.0                                  // 000000007F28: D1010005 0001E505
	v_add_f32_e64 v6, v6, 1.0                                  // 000000007F30: D1010006 0001E506
	v_add_f32_e64 v7, v7, 1.0                                  // 000000007F38: D1010007 0001E507
	v_rcp_f32_e32 v4, v4                                       // 000000007F40: 7E084504
	v_rcp_f32_e32 v5, v5                                       // 000000007F44: 7E0A4505
	v_rcp_f32_e32 v6, v6                                       // 000000007F48: 7E0C4506
	v_rcp_f32_e32 v7, v7                                       // 000000007F4C: 7E0E4507
	v_mul_f32_e32 v72, v72, v4                                 // 000000007F50: 0A900948
	v_mul_f32_e32 v73, v73, v5                                 // 000000007F54: 0A920B49
	v_mul_f32_e32 v74, v74, v6                                 // 000000007F58: 0A940D4A
	v_mul_f32_e32 v75, v75, v7                                 // 000000007F5C: 0A960F4B
	v_mul_f32_e32 v72, v72, v168                               // 000000007F60: 0A915148
	v_mul_f32_e32 v73, v73, v169                               // 000000007F64: 0A935349
	v_mul_f32_e32 v74, v74, v170                               // 000000007F68: 0A95554A
	v_mul_f32_e32 v75, v75, v171                               // 000000007F6C: 0A97574B
	v_mul_f32_e64 v4, -v76, s6                                 // 000000007F70: D1050004 20000D4C
	v_mul_f32_e64 v5, -v77, s6                                 // 000000007F78: D1050005 20000D4D
	v_mul_f32_e64 v6, -v78, s6                                 // 000000007F80: D1050006 20000D4E
	v_mul_f32_e64 v7, -v79, s6                                 // 000000007F88: D1050007 20000D4F
	v_exp_f32_e32 v4, v4                                       // 000000007F90: 7E084104
	v_exp_f32_e32 v5, v5                                       // 000000007F94: 7E0A4105
	v_exp_f32_e32 v6, v6                                       // 000000007F98: 7E0C4106
	v_exp_f32_e32 v7, v7                                       // 000000007F9C: 7E0E4107
	v_add_f32_e64 v4, v4, 1.0                                  // 000000007FA0: D1010004 0001E504
	v_add_f32_e64 v5, v5, 1.0                                  // 000000007FA8: D1010005 0001E505
	v_add_f32_e64 v6, v6, 1.0                                  // 000000007FB0: D1010006 0001E506
	v_add_f32_e64 v7, v7, 1.0                                  // 000000007FB8: D1010007 0001E507
	v_rcp_f32_e32 v4, v4                                       // 000000007FC0: 7E084504
	v_rcp_f32_e32 v5, v5                                       // 000000007FC4: 7E0A4505
	v_rcp_f32_e32 v6, v6                                       // 000000007FC8: 7E0C4506
	v_rcp_f32_e32 v7, v7                                       // 000000007FCC: 7E0E4507
	v_mul_f32_e32 v76, v76, v4                                 // 000000007FD0: 0A98094C
	v_mul_f32_e32 v77, v77, v5                                 // 000000007FD4: 0A9A0B4D
	v_mul_f32_e32 v78, v78, v6                                 // 000000007FD8: 0A9C0D4E
	v_mul_f32_e32 v79, v79, v7                                 // 000000007FDC: 0A9E0F4F
	v_mul_f32_e32 v76, v76, v172                               // 000000007FE0: 0A99594C
	v_mul_f32_e32 v77, v77, v173                               // 000000007FE4: 0A9B5B4D
	v_mul_f32_e32 v78, v78, v174                               // 000000007FE8: 0A9D5D4E
	v_mul_f32_e32 v79, v79, v175                               // 000000007FEC: 0A9F5F4F
	v_mul_f32_e64 v4, -v80, s6                                 // 000000007FF0: D1050004 20000D50
	v_mul_f32_e64 v5, -v81, s6                                 // 000000007FF8: D1050005 20000D51
	v_mul_f32_e64 v6, -v82, s6                                 // 000000008000: D1050006 20000D52
	v_mul_f32_e64 v7, -v83, s6                                 // 000000008008: D1050007 20000D53
	v_exp_f32_e32 v4, v4                                       // 000000008010: 7E084104
	v_exp_f32_e32 v5, v5                                       // 000000008014: 7E0A4105
	v_exp_f32_e32 v6, v6                                       // 000000008018: 7E0C4106
	v_exp_f32_e32 v7, v7                                       // 00000000801C: 7E0E4107
	v_add_f32_e64 v4, v4, 1.0                                  // 000000008020: D1010004 0001E504
	v_add_f32_e64 v5, v5, 1.0                                  // 000000008028: D1010005 0001E505
	v_add_f32_e64 v6, v6, 1.0                                  // 000000008030: D1010006 0001E506
	v_add_f32_e64 v7, v7, 1.0                                  // 000000008038: D1010007 0001E507
	v_rcp_f32_e32 v4, v4                                       // 000000008040: 7E084504
	v_rcp_f32_e32 v5, v5                                       // 000000008044: 7E0A4505
	v_rcp_f32_e32 v6, v6                                       // 000000008048: 7E0C4506
	v_rcp_f32_e32 v7, v7                                       // 00000000804C: 7E0E4507
	v_mul_f32_e32 v80, v80, v4                                 // 000000008050: 0AA00950
	v_mul_f32_e32 v81, v81, v5                                 // 000000008054: 0AA20B51
	v_mul_f32_e32 v82, v82, v6                                 // 000000008058: 0AA40D52
	v_mul_f32_e32 v83, v83, v7                                 // 00000000805C: 0AA60F53
	v_mul_f32_e32 v80, v80, v176                               // 000000008060: 0AA16150
	v_mul_f32_e32 v81, v81, v177                               // 000000008064: 0AA36351
	v_mul_f32_e32 v82, v82, v178                               // 000000008068: 0AA56552
	v_mul_f32_e32 v83, v83, v179                               // 00000000806C: 0AA76753
	v_mul_f32_e64 v4, -v84, s6                                 // 000000008070: D1050004 20000D54
	v_mul_f32_e64 v5, -v85, s6                                 // 000000008078: D1050005 20000D55
	v_mul_f32_e64 v6, -v86, s6                                 // 000000008080: D1050006 20000D56
	v_mul_f32_e64 v7, -v87, s6                                 // 000000008088: D1050007 20000D57
	v_exp_f32_e32 v4, v4                                       // 000000008090: 7E084104
	v_exp_f32_e32 v5, v5                                       // 000000008094: 7E0A4105
	v_exp_f32_e32 v6, v6                                       // 000000008098: 7E0C4106
	v_exp_f32_e32 v7, v7                                       // 00000000809C: 7E0E4107
	v_add_f32_e64 v4, v4, 1.0                                  // 0000000080A0: D1010004 0001E504
	v_add_f32_e64 v5, v5, 1.0                                  // 0000000080A8: D1010005 0001E505
	v_add_f32_e64 v6, v6, 1.0                                  // 0000000080B0: D1010006 0001E506
	v_add_f32_e64 v7, v7, 1.0                                  // 0000000080B8: D1010007 0001E507
	v_rcp_f32_e32 v4, v4                                       // 0000000080C0: 7E084504
	v_rcp_f32_e32 v5, v5                                       // 0000000080C4: 7E0A4505
	v_rcp_f32_e32 v6, v6                                       // 0000000080C8: 7E0C4506
	v_rcp_f32_e32 v7, v7                                       // 0000000080CC: 7E0E4507
	v_mul_f32_e32 v84, v84, v4                                 // 0000000080D0: 0AA80954
	v_mul_f32_e32 v85, v85, v5                                 // 0000000080D4: 0AAA0B55
	v_mul_f32_e32 v86, v86, v6                                 // 0000000080D8: 0AAC0D56
	v_mul_f32_e32 v87, v87, v7                                 // 0000000080DC: 0AAE0F57
	v_mul_f32_e32 v84, v84, v180                               // 0000000080E0: 0AA96954
	v_mul_f32_e32 v85, v85, v181                               // 0000000080E4: 0AAB6B55
	v_mul_f32_e32 v86, v86, v182                               // 0000000080E8: 0AAD6D56
	v_mul_f32_e32 v87, v87, v183                               // 0000000080EC: 0AAF6F57
	v_mul_f32_e64 v4, -v88, s6                                 // 0000000080F0: D1050004 20000D58
	v_mul_f32_e64 v5, -v89, s6                                 // 0000000080F8: D1050005 20000D59
	v_mul_f32_e64 v6, -v90, s6                                 // 000000008100: D1050006 20000D5A
	v_mul_f32_e64 v7, -v91, s6                                 // 000000008108: D1050007 20000D5B
	v_exp_f32_e32 v4, v4                                       // 000000008110: 7E084104
	v_exp_f32_e32 v5, v5                                       // 000000008114: 7E0A4105
	v_exp_f32_e32 v6, v6                                       // 000000008118: 7E0C4106
	v_exp_f32_e32 v7, v7                                       // 00000000811C: 7E0E4107
	v_add_f32_e64 v4, v4, 1.0                                  // 000000008120: D1010004 0001E504
	v_add_f32_e64 v5, v5, 1.0                                  // 000000008128: D1010005 0001E505
	v_add_f32_e64 v6, v6, 1.0                                  // 000000008130: D1010006 0001E506
	v_add_f32_e64 v7, v7, 1.0                                  // 000000008138: D1010007 0001E507
	v_rcp_f32_e32 v4, v4                                       // 000000008140: 7E084504
	v_rcp_f32_e32 v5, v5                                       // 000000008144: 7E0A4505
	v_rcp_f32_e32 v6, v6                                       // 000000008148: 7E0C4506
	v_rcp_f32_e32 v7, v7                                       // 00000000814C: 7E0E4507
	v_mul_f32_e32 v88, v88, v4                                 // 000000008150: 0AB00958
	v_mul_f32_e32 v89, v89, v5                                 // 000000008154: 0AB20B59
	v_mul_f32_e32 v90, v90, v6                                 // 000000008158: 0AB40D5A
	v_mul_f32_e32 v91, v91, v7                                 // 00000000815C: 0AB60F5B
	v_mul_f32_e32 v88, v88, v184                               // 000000008160: 0AB17158
	v_mul_f32_e32 v89, v89, v185                               // 000000008164: 0AB37359
	v_mul_f32_e32 v90, v90, v186                               // 000000008168: 0AB5755A
	v_mul_f32_e32 v91, v91, v187                               // 00000000816C: 0AB7775B
	v_mul_f32_e64 v4, -v92, s6                                 // 000000008170: D1050004 20000D5C
	v_mul_f32_e64 v5, -v93, s6                                 // 000000008178: D1050005 20000D5D
	v_mul_f32_e64 v6, -v94, s6                                 // 000000008180: D1050006 20000D5E
	v_mul_f32_e64 v7, -v95, s6                                 // 000000008188: D1050007 20000D5F
	v_exp_f32_e32 v4, v4                                       // 000000008190: 7E084104
	v_exp_f32_e32 v5, v5                                       // 000000008194: 7E0A4105
	v_exp_f32_e32 v6, v6                                       // 000000008198: 7E0C4106
	v_exp_f32_e32 v7, v7                                       // 00000000819C: 7E0E4107
	v_add_f32_e64 v4, v4, 1.0                                  // 0000000081A0: D1010004 0001E504
	v_add_f32_e64 v5, v5, 1.0                                  // 0000000081A8: D1010005 0001E505
	v_add_f32_e64 v6, v6, 1.0                                  // 0000000081B0: D1010006 0001E506
	v_add_f32_e64 v7, v7, 1.0                                  // 0000000081B8: D1010007 0001E507
	v_rcp_f32_e32 v4, v4                                       // 0000000081C0: 7E084504
	v_rcp_f32_e32 v5, v5                                       // 0000000081C4: 7E0A4505
	v_rcp_f32_e32 v6, v6                                       // 0000000081C8: 7E0C4506
	v_rcp_f32_e32 v7, v7                                       // 0000000081CC: 7E0E4507
	v_mul_f32_e32 v92, v92, v4                                 // 0000000081D0: 0AB8095C
	v_mul_f32_e32 v93, v93, v5                                 // 0000000081D4: 0ABA0B5D
	v_mul_f32_e32 v94, v94, v6                                 // 0000000081D8: 0ABC0D5E
	v_mul_f32_e32 v95, v95, v7                                 // 0000000081DC: 0ABE0F5F
	v_mul_f32_e32 v92, v92, v188                               // 0000000081E0: 0AB9795C
	v_mul_f32_e32 v93, v93, v189                               // 0000000081E4: 0ABB7B5D
	v_mul_f32_e32 v94, v94, v190                               // 0000000081E8: 0ABD7D5E
	v_mul_f32_e32 v95, v95, v191                               // 0000000081EC: 0ABF7F5F
	v_mul_f32_e64 v4, -v96, s6                                 // 0000000081F0: D1050004 20000D60
	v_mul_f32_e64 v5, -v97, s6                                 // 0000000081F8: D1050005 20000D61
	v_mul_f32_e64 v6, -v98, s6                                 // 000000008200: D1050006 20000D62
	v_mul_f32_e64 v7, -v99, s6                                 // 000000008208: D1050007 20000D63
	v_exp_f32_e32 v4, v4                                       // 000000008210: 7E084104
	v_exp_f32_e32 v5, v5                                       // 000000008214: 7E0A4105
	v_exp_f32_e32 v6, v6                                       // 000000008218: 7E0C4106
	v_exp_f32_e32 v7, v7                                       // 00000000821C: 7E0E4107
	v_add_f32_e64 v4, v4, 1.0                                  // 000000008220: D1010004 0001E504
	v_add_f32_e64 v5, v5, 1.0                                  // 000000008228: D1010005 0001E505
	v_add_f32_e64 v6, v6, 1.0                                  // 000000008230: D1010006 0001E506
	v_add_f32_e64 v7, v7, 1.0                                  // 000000008238: D1010007 0001E507
	v_rcp_f32_e32 v4, v4                                       // 000000008240: 7E084504
	v_rcp_f32_e32 v5, v5                                       // 000000008244: 7E0A4505
	v_rcp_f32_e32 v6, v6                                       // 000000008248: 7E0C4506
	v_rcp_f32_e32 v7, v7                                       // 00000000824C: 7E0E4507
	v_mul_f32_e32 v96, v96, v4                                 // 000000008250: 0AC00960
	v_mul_f32_e32 v97, v97, v5                                 // 000000008254: 0AC20B61
	v_mul_f32_e32 v98, v98, v6                                 // 000000008258: 0AC40D62
	v_mul_f32_e32 v99, v99, v7                                 // 00000000825C: 0AC60F63
	v_mul_f32_e32 v96, v96, v192                               // 000000008260: 0AC18160
	v_mul_f32_e32 v97, v97, v193                               // 000000008264: 0AC38361
	v_mul_f32_e32 v98, v98, v194                               // 000000008268: 0AC58562
	v_mul_f32_e32 v99, v99, v195                               // 00000000826C: 0AC78763
	v_mul_f32_e64 v4, -v100, s6                                // 000000008270: D1050004 20000D64
	v_mul_f32_e64 v5, -v101, s6                                // 000000008278: D1050005 20000D65
	v_mul_f32_e64 v6, -v102, s6                                // 000000008280: D1050006 20000D66
	v_mul_f32_e64 v7, -v103, s6                                // 000000008288: D1050007 20000D67
	v_exp_f32_e32 v4, v4                                       // 000000008290: 7E084104
	v_exp_f32_e32 v5, v5                                       // 000000008294: 7E0A4105
	v_exp_f32_e32 v6, v6                                       // 000000008298: 7E0C4106
	v_exp_f32_e32 v7, v7                                       // 00000000829C: 7E0E4107
	v_add_f32_e64 v4, v4, 1.0                                  // 0000000082A0: D1010004 0001E504
	v_add_f32_e64 v5, v5, 1.0                                  // 0000000082A8: D1010005 0001E505
	v_add_f32_e64 v6, v6, 1.0                                  // 0000000082B0: D1010006 0001E506
	v_add_f32_e64 v7, v7, 1.0                                  // 0000000082B8: D1010007 0001E507
	v_rcp_f32_e32 v4, v4                                       // 0000000082C0: 7E084504
	v_rcp_f32_e32 v5, v5                                       // 0000000082C4: 7E0A4505
	v_rcp_f32_e32 v6, v6                                       // 0000000082C8: 7E0C4506
	v_rcp_f32_e32 v7, v7                                       // 0000000082CC: 7E0E4507
	v_mul_f32_e32 v100, v100, v4                               // 0000000082D0: 0AC80964
	v_mul_f32_e32 v101, v101, v5                               // 0000000082D4: 0ACA0B65
	v_mul_f32_e32 v102, v102, v6                               // 0000000082D8: 0ACC0D66
	v_mul_f32_e32 v103, v103, v7                               // 0000000082DC: 0ACE0F67
	v_mul_f32_e32 v100, v100, v196                             // 0000000082E0: 0AC98964
	v_mul_f32_e32 v101, v101, v197                             // 0000000082E4: 0ACB8B65
	v_mul_f32_e32 v102, v102, v198                             // 0000000082E8: 0ACD8D66
	v_mul_f32_e32 v103, v103, v199                             // 0000000082EC: 0ACF8F67
	v_mul_f32_e64 v4, -v104, s6                                // 0000000082F0: D1050004 20000D68
	v_mul_f32_e64 v5, -v105, s6                                // 0000000082F8: D1050005 20000D69
	v_mul_f32_e64 v6, -v106, s6                                // 000000008300: D1050006 20000D6A
	v_mul_f32_e64 v7, -v107, s6                                // 000000008308: D1050007 20000D6B
	v_exp_f32_e32 v4, v4                                       // 000000008310: 7E084104
	v_exp_f32_e32 v5, v5                                       // 000000008314: 7E0A4105
	v_exp_f32_e32 v6, v6                                       // 000000008318: 7E0C4106
	v_exp_f32_e32 v7, v7                                       // 00000000831C: 7E0E4107
	v_add_f32_e64 v4, v4, 1.0                                  // 000000008320: D1010004 0001E504
	v_add_f32_e64 v5, v5, 1.0                                  // 000000008328: D1010005 0001E505
	v_add_f32_e64 v6, v6, 1.0                                  // 000000008330: D1010006 0001E506
	v_add_f32_e64 v7, v7, 1.0                                  // 000000008338: D1010007 0001E507
	v_rcp_f32_e32 v4, v4                                       // 000000008340: 7E084504
	v_rcp_f32_e32 v5, v5                                       // 000000008344: 7E0A4505
	v_rcp_f32_e32 v6, v6                                       // 000000008348: 7E0C4506
	v_rcp_f32_e32 v7, v7                                       // 00000000834C: 7E0E4507
	v_mul_f32_e32 v104, v104, v4                               // 000000008350: 0AD00968
	v_mul_f32_e32 v105, v105, v5                               // 000000008354: 0AD20B69
	v_mul_f32_e32 v106, v106, v6                               // 000000008358: 0AD40D6A
	v_mul_f32_e32 v107, v107, v7                               // 00000000835C: 0AD60F6B
	v_mul_f32_e32 v104, v104, v200                             // 000000008360: 0AD19168
	v_mul_f32_e32 v105, v105, v201                             // 000000008364: 0AD39369
	v_mul_f32_e32 v106, v106, v202                             // 000000008368: 0AD5956A
	v_mul_f32_e32 v107, v107, v203                             // 00000000836C: 0AD7976B
	v_mul_f32_e64 v4, -v108, s6                                // 000000008370: D1050004 20000D6C
	v_mul_f32_e64 v5, -v109, s6                                // 000000008378: D1050005 20000D6D
	v_mul_f32_e64 v6, -v110, s6                                // 000000008380: D1050006 20000D6E
	v_mul_f32_e64 v7, -v111, s6                                // 000000008388: D1050007 20000D6F
	v_exp_f32_e32 v4, v4                                       // 000000008390: 7E084104
	v_exp_f32_e32 v5, v5                                       // 000000008394: 7E0A4105
	v_exp_f32_e32 v6, v6                                       // 000000008398: 7E0C4106
	v_exp_f32_e32 v7, v7                                       // 00000000839C: 7E0E4107
	v_add_f32_e64 v4, v4, 1.0                                  // 0000000083A0: D1010004 0001E504
	v_add_f32_e64 v5, v5, 1.0                                  // 0000000083A8: D1010005 0001E505
	v_add_f32_e64 v6, v6, 1.0                                  // 0000000083B0: D1010006 0001E506
	v_add_f32_e64 v7, v7, 1.0                                  // 0000000083B8: D1010007 0001E507
	v_rcp_f32_e32 v4, v4                                       // 0000000083C0: 7E084504
	v_rcp_f32_e32 v5, v5                                       // 0000000083C4: 7E0A4505
	v_rcp_f32_e32 v6, v6                                       // 0000000083C8: 7E0C4506
	v_rcp_f32_e32 v7, v7                                       // 0000000083CC: 7E0E4507
	v_mul_f32_e32 v108, v108, v4                               // 0000000083D0: 0AD8096C
	v_mul_f32_e32 v109, v109, v5                               // 0000000083D4: 0ADA0B6D
	v_mul_f32_e32 v110, v110, v6                               // 0000000083D8: 0ADC0D6E
	v_mul_f32_e32 v111, v111, v7                               // 0000000083DC: 0ADE0F6F
	v_mul_f32_e32 v108, v108, v204                             // 0000000083E0: 0AD9996C
	v_mul_f32_e32 v109, v109, v205                             // 0000000083E4: 0ADB9B6D
	v_mul_f32_e32 v110, v110, v206                             // 0000000083E8: 0ADD9D6E
	v_mul_f32_e32 v111, v111, v207                             // 0000000083EC: 0ADF9F6F
	v_mul_f32_e64 v4, -v112, s6                                // 0000000083F0: D1050004 20000D70
	v_mul_f32_e64 v5, -v113, s6                                // 0000000083F8: D1050005 20000D71
	v_mul_f32_e64 v6, -v114, s6                                // 000000008400: D1050006 20000D72
	v_mul_f32_e64 v7, -v115, s6                                // 000000008408: D1050007 20000D73
	v_exp_f32_e32 v4, v4                                       // 000000008410: 7E084104
	v_exp_f32_e32 v5, v5                                       // 000000008414: 7E0A4105
	v_exp_f32_e32 v6, v6                                       // 000000008418: 7E0C4106
	v_exp_f32_e32 v7, v7                                       // 00000000841C: 7E0E4107
	v_add_f32_e64 v4, v4, 1.0                                  // 000000008420: D1010004 0001E504
	v_add_f32_e64 v5, v5, 1.0                                  // 000000008428: D1010005 0001E505
	v_add_f32_e64 v6, v6, 1.0                                  // 000000008430: D1010006 0001E506
	v_add_f32_e64 v7, v7, 1.0                                  // 000000008438: D1010007 0001E507
	v_rcp_f32_e32 v4, v4                                       // 000000008440: 7E084504
	v_rcp_f32_e32 v5, v5                                       // 000000008444: 7E0A4505
	v_rcp_f32_e32 v6, v6                                       // 000000008448: 7E0C4506
	v_rcp_f32_e32 v7, v7                                       // 00000000844C: 7E0E4507
	v_mul_f32_e32 v112, v112, v4                               // 000000008450: 0AE00970
	v_mul_f32_e32 v113, v113, v5                               // 000000008454: 0AE20B71
	v_mul_f32_e32 v114, v114, v6                               // 000000008458: 0AE40D72
	v_mul_f32_e32 v115, v115, v7                               // 00000000845C: 0AE60F73
	v_mul_f32_e32 v112, v112, v208                             // 000000008460: 0AE1A170
	v_mul_f32_e32 v113, v113, v209                             // 000000008464: 0AE3A371
	v_mul_f32_e32 v114, v114, v210                             // 000000008468: 0AE5A572
	v_mul_f32_e32 v115, v115, v211                             // 00000000846C: 0AE7A773
	v_mul_f32_e64 v4, -v116, s6                                // 000000008470: D1050004 20000D74
	v_mul_f32_e64 v5, -v117, s6                                // 000000008478: D1050005 20000D75
	v_mul_f32_e64 v6, -v118, s6                                // 000000008480: D1050006 20000D76
	v_mul_f32_e64 v7, -v119, s6                                // 000000008488: D1050007 20000D77
	v_exp_f32_e32 v4, v4                                       // 000000008490: 7E084104
	v_exp_f32_e32 v5, v5                                       // 000000008494: 7E0A4105
	v_exp_f32_e32 v6, v6                                       // 000000008498: 7E0C4106
	v_exp_f32_e32 v7, v7                                       // 00000000849C: 7E0E4107
	v_add_f32_e64 v4, v4, 1.0                                  // 0000000084A0: D1010004 0001E504
	v_add_f32_e64 v5, v5, 1.0                                  // 0000000084A8: D1010005 0001E505
	v_add_f32_e64 v6, v6, 1.0                                  // 0000000084B0: D1010006 0001E506
	v_add_f32_e64 v7, v7, 1.0                                  // 0000000084B8: D1010007 0001E507
	v_rcp_f32_e32 v4, v4                                       // 0000000084C0: 7E084504
	v_rcp_f32_e32 v5, v5                                       // 0000000084C4: 7E0A4505
	v_rcp_f32_e32 v6, v6                                       // 0000000084C8: 7E0C4506
	v_rcp_f32_e32 v7, v7                                       // 0000000084CC: 7E0E4507
	v_mul_f32_e32 v116, v116, v4                               // 0000000084D0: 0AE80974
	v_mul_f32_e32 v117, v117, v5                               // 0000000084D4: 0AEA0B75
	v_mul_f32_e32 v118, v118, v6                               // 0000000084D8: 0AEC0D76
	v_mul_f32_e32 v119, v119, v7                               // 0000000084DC: 0AEE0F77
	v_mul_f32_e32 v116, v116, v212                             // 0000000084E0: 0AE9A974
	v_mul_f32_e32 v117, v117, v213                             // 0000000084E4: 0AEBAB75
	v_mul_f32_e32 v118, v118, v214                             // 0000000084E8: 0AEDAD76
	v_mul_f32_e32 v119, v119, v215                             // 0000000084EC: 0AEFAF77
	v_mul_f32_e64 v4, -v120, s6                                // 0000000084F0: D1050004 20000D78
	v_mul_f32_e64 v5, -v121, s6                                // 0000000084F8: D1050005 20000D79
	v_mul_f32_e64 v6, -v122, s6                                // 000000008500: D1050006 20000D7A
	v_mul_f32_e64 v7, -v123, s6                                // 000000008508: D1050007 20000D7B
	v_exp_f32_e32 v4, v4                                       // 000000008510: 7E084104
	v_exp_f32_e32 v5, v5                                       // 000000008514: 7E0A4105
	v_exp_f32_e32 v6, v6                                       // 000000008518: 7E0C4106
	v_exp_f32_e32 v7, v7                                       // 00000000851C: 7E0E4107
	v_add_f32_e64 v4, v4, 1.0                                  // 000000008520: D1010004 0001E504
	v_add_f32_e64 v5, v5, 1.0                                  // 000000008528: D1010005 0001E505
	v_add_f32_e64 v6, v6, 1.0                                  // 000000008530: D1010006 0001E506
	v_add_f32_e64 v7, v7, 1.0                                  // 000000008538: D1010007 0001E507
	v_rcp_f32_e32 v4, v4                                       // 000000008540: 7E084504
	v_rcp_f32_e32 v5, v5                                       // 000000008544: 7E0A4505
	v_rcp_f32_e32 v6, v6                                       // 000000008548: 7E0C4506
	v_rcp_f32_e32 v7, v7                                       // 00000000854C: 7E0E4507
	v_mul_f32_e32 v120, v120, v4                               // 000000008550: 0AF00978
	v_mul_f32_e32 v121, v121, v5                               // 000000008554: 0AF20B79
	v_mul_f32_e32 v122, v122, v6                               // 000000008558: 0AF40D7A
	v_mul_f32_e32 v123, v123, v7                               // 00000000855C: 0AF60F7B
	v_mul_f32_e32 v120, v120, v216                             // 000000008560: 0AF1B178
	v_mul_f32_e32 v121, v121, v217                             // 000000008564: 0AF3B379
	v_mul_f32_e32 v122, v122, v218                             // 000000008568: 0AF5B57A
	v_mul_f32_e32 v123, v123, v219                             // 00000000856C: 0AF7B77B
	v_mul_f32_e64 v4, -v124, s6                                // 000000008570: D1050004 20000D7C
	v_mul_f32_e64 v5, -v125, s6                                // 000000008578: D1050005 20000D7D
	v_mul_f32_e64 v6, -v126, s6                                // 000000008580: D1050006 20000D7E
	v_mul_f32_e64 v7, -v127, s6                                // 000000008588: D1050007 20000D7F
	v_exp_f32_e32 v4, v4                                       // 000000008590: 7E084104
	v_exp_f32_e32 v5, v5                                       // 000000008594: 7E0A4105
	v_exp_f32_e32 v6, v6                                       // 000000008598: 7E0C4106
	v_exp_f32_e32 v7, v7                                       // 00000000859C: 7E0E4107
	v_add_f32_e64 v4, v4, 1.0                                  // 0000000085A0: D1010004 0001E504
	v_add_f32_e64 v5, v5, 1.0                                  // 0000000085A8: D1010005 0001E505
	v_add_f32_e64 v6, v6, 1.0                                  // 0000000085B0: D1010006 0001E506
	v_add_f32_e64 v7, v7, 1.0                                  // 0000000085B8: D1010007 0001E507
	v_rcp_f32_e32 v4, v4                                       // 0000000085C0: 7E084504
	v_rcp_f32_e32 v5, v5                                       // 0000000085C4: 7E0A4505
	v_rcp_f32_e32 v6, v6                                       // 0000000085C8: 7E0C4506
	v_rcp_f32_e32 v7, v7                                       // 0000000085CC: 7E0E4507
	v_mul_f32_e32 v124, v124, v4                               // 0000000085D0: 0AF8097C
	v_mul_f32_e32 v125, v125, v5                               // 0000000085D4: 0AFA0B7D
	v_mul_f32_e32 v126, v126, v6                               // 0000000085D8: 0AFC0D7E
	v_mul_f32_e32 v127, v127, v7                               // 0000000085DC: 0AFE0F7F
	v_mul_f32_e32 v124, v124, v220                             // 0000000085E0: 0AF9B97C
	v_mul_f32_e32 v125, v125, v221                             // 0000000085E4: 0AFBBB7D
	v_mul_f32_e32 v126, v126, v222                             // 0000000085E8: 0AFDBD7E
	v_mul_f32_e32 v127, v127, v223                             // 0000000085EC: 0AFFBF7F
	v_mul_f32_e64 v4, -v128, s6                                // 0000000085F0: D1050004 20000D80
	v_mul_f32_e64 v5, -v129, s6                                // 0000000085F8: D1050005 20000D81
	v_mul_f32_e64 v6, -v130, s6                                // 000000008600: D1050006 20000D82
	v_mul_f32_e64 v7, -v131, s6                                // 000000008608: D1050007 20000D83
	v_exp_f32_e32 v4, v4                                       // 000000008610: 7E084104
	v_exp_f32_e32 v5, v5                                       // 000000008614: 7E0A4105
	v_exp_f32_e32 v6, v6                                       // 000000008618: 7E0C4106
	v_exp_f32_e32 v7, v7                                       // 00000000861C: 7E0E4107
	v_add_f32_e64 v4, v4, 1.0                                  // 000000008620: D1010004 0001E504
	v_add_f32_e64 v5, v5, 1.0                                  // 000000008628: D1010005 0001E505
	v_add_f32_e64 v6, v6, 1.0                                  // 000000008630: D1010006 0001E506
	v_add_f32_e64 v7, v7, 1.0                                  // 000000008638: D1010007 0001E507
	v_rcp_f32_e32 v4, v4                                       // 000000008640: 7E084504
	v_rcp_f32_e32 v5, v5                                       // 000000008644: 7E0A4505
	v_rcp_f32_e32 v6, v6                                       // 000000008648: 7E0C4506
	v_rcp_f32_e32 v7, v7                                       // 00000000864C: 7E0E4507
	v_mul_f32_e32 v128, v128, v4                               // 000000008650: 0B000980
	v_mul_f32_e32 v129, v129, v5                               // 000000008654: 0B020B81
	v_mul_f32_e32 v130, v130, v6                               // 000000008658: 0B040D82
	v_mul_f32_e32 v131, v131, v7                               // 00000000865C: 0B060F83
	v_mul_f32_e32 v128, v128, v224                             // 000000008660: 0B01C180
	v_mul_f32_e32 v129, v129, v225                             // 000000008664: 0B03C381
	v_mul_f32_e32 v130, v130, v226                             // 000000008668: 0B05C582
	v_mul_f32_e32 v131, v131, v227                             // 00000000866C: 0B07C783
	v_mul_f32_e64 v4, -v132, s6                                // 000000008670: D1050004 20000D84
	v_mul_f32_e64 v5, -v133, s6                                // 000000008678: D1050005 20000D85
	v_mul_f32_e64 v6, -v134, s6                                // 000000008680: D1050006 20000D86
	v_mul_f32_e64 v7, -v135, s6                                // 000000008688: D1050007 20000D87
	v_exp_f32_e32 v4, v4                                       // 000000008690: 7E084104
	v_exp_f32_e32 v5, v5                                       // 000000008694: 7E0A4105
	v_exp_f32_e32 v6, v6                                       // 000000008698: 7E0C4106
	v_exp_f32_e32 v7, v7                                       // 00000000869C: 7E0E4107
	v_add_f32_e64 v4, v4, 1.0                                  // 0000000086A0: D1010004 0001E504
	v_add_f32_e64 v5, v5, 1.0                                  // 0000000086A8: D1010005 0001E505
	v_add_f32_e64 v6, v6, 1.0                                  // 0000000086B0: D1010006 0001E506
	v_add_f32_e64 v7, v7, 1.0                                  // 0000000086B8: D1010007 0001E507
	v_rcp_f32_e32 v4, v4                                       // 0000000086C0: 7E084504
	v_rcp_f32_e32 v5, v5                                       // 0000000086C4: 7E0A4505
	v_rcp_f32_e32 v6, v6                                       // 0000000086C8: 7E0C4506
	v_rcp_f32_e32 v7, v7                                       // 0000000086CC: 7E0E4507
	v_mul_f32_e32 v132, v132, v4                               // 0000000086D0: 0B080984
	v_mul_f32_e32 v133, v133, v5                               // 0000000086D4: 0B0A0B85
	v_mul_f32_e32 v134, v134, v6                               // 0000000086D8: 0B0C0D86
	v_mul_f32_e32 v135, v135, v7                               // 0000000086DC: 0B0E0F87
	v_mul_f32_e32 v132, v132, v228                             // 0000000086E0: 0B09C984
	v_mul_f32_e32 v133, v133, v229                             // 0000000086E4: 0B0BCB85
	v_mul_f32_e32 v134, v134, v230                             // 0000000086E8: 0B0DCD86
	v_mul_f32_e32 v135, v135, v231                             // 0000000086EC: 0B0FCF87
	v_mul_f32_e64 v4, -v136, s6                                // 0000000086F0: D1050004 20000D88
	v_mul_f32_e64 v5, -v137, s6                                // 0000000086F8: D1050005 20000D89
	v_mul_f32_e64 v6, -v138, s6                                // 000000008700: D1050006 20000D8A
	v_mul_f32_e64 v7, -v139, s6                                // 000000008708: D1050007 20000D8B
	v_exp_f32_e32 v4, v4                                       // 000000008710: 7E084104
	v_exp_f32_e32 v5, v5                                       // 000000008714: 7E0A4105
	v_exp_f32_e32 v6, v6                                       // 000000008718: 7E0C4106
	v_exp_f32_e32 v7, v7                                       // 00000000871C: 7E0E4107
	v_add_f32_e64 v4, v4, 1.0                                  // 000000008720: D1010004 0001E504
	v_add_f32_e64 v5, v5, 1.0                                  // 000000008728: D1010005 0001E505
	v_add_f32_e64 v6, v6, 1.0                                  // 000000008730: D1010006 0001E506
	v_add_f32_e64 v7, v7, 1.0                                  // 000000008738: D1010007 0001E507
	v_rcp_f32_e32 v4, v4                                       // 000000008740: 7E084504
	v_rcp_f32_e32 v5, v5                                       // 000000008744: 7E0A4505
	v_rcp_f32_e32 v6, v6                                       // 000000008748: 7E0C4506
	v_rcp_f32_e32 v7, v7                                       // 00000000874C: 7E0E4507
	v_mul_f32_e32 v136, v136, v4                               // 000000008750: 0B100988
	v_mul_f32_e32 v137, v137, v5                               // 000000008754: 0B120B89
	v_mul_f32_e32 v138, v138, v6                               // 000000008758: 0B140D8A
	v_mul_f32_e32 v139, v139, v7                               // 00000000875C: 0B160F8B
	v_mul_f32_e32 v136, v136, v232                             // 000000008760: 0B11D188
	v_mul_f32_e32 v137, v137, v233                             // 000000008764: 0B13D389
	v_mul_f32_e32 v138, v138, v234                             // 000000008768: 0B15D58A
	v_mul_f32_e32 v139, v139, v235                             // 00000000876C: 0B17D78B
	v_mul_f32_e64 v4, -v140, s6                                // 000000008770: D1050004 20000D8C
	v_mul_f32_e64 v5, -v141, s6                                // 000000008778: D1050005 20000D8D
	v_mul_f32_e64 v6, -v142, s6                                // 000000008780: D1050006 20000D8E
	v_mul_f32_e64 v7, -v143, s6                                // 000000008788: D1050007 20000D8F
	v_exp_f32_e32 v4, v4                                       // 000000008790: 7E084104
	v_exp_f32_e32 v5, v5                                       // 000000008794: 7E0A4105
	v_exp_f32_e32 v6, v6                                       // 000000008798: 7E0C4106
	v_exp_f32_e32 v7, v7                                       // 00000000879C: 7E0E4107
	v_add_f32_e64 v4, v4, 1.0                                  // 0000000087A0: D1010004 0001E504
	v_add_f32_e64 v5, v5, 1.0                                  // 0000000087A8: D1010005 0001E505
	v_add_f32_e64 v6, v6, 1.0                                  // 0000000087B0: D1010006 0001E506
	v_add_f32_e64 v7, v7, 1.0                                  // 0000000087B8: D1010007 0001E507
	v_rcp_f32_e32 v4, v4                                       // 0000000087C0: 7E084504
	v_rcp_f32_e32 v5, v5                                       // 0000000087C4: 7E0A4505
	v_rcp_f32_e32 v6, v6                                       // 0000000087C8: 7E0C4506
	v_rcp_f32_e32 v7, v7                                       // 0000000087CC: 7E0E4507
	v_mul_f32_e32 v140, v140, v4                               // 0000000087D0: 0B18098C
	v_mul_f32_e32 v141, v141, v5                               // 0000000087D4: 0B1A0B8D
	v_mul_f32_e32 v142, v142, v6                               // 0000000087D8: 0B1C0D8E
	v_mul_f32_e32 v143, v143, v7                               // 0000000087DC: 0B1E0F8F
	v_mul_f32_e32 v140, v140, v236                             // 0000000087E0: 0B19D98C
	v_mul_f32_e32 v141, v141, v237                             // 0000000087E4: 0B1BDB8D
	v_mul_f32_e32 v142, v142, v238                             // 0000000087E8: 0B1DDD8E
	v_mul_f32_e32 v143, v143, v239                             // 0000000087EC: 0B1FDF8F
	v_mul_f32_e64 v4, -v144, s6                                // 0000000087F0: D1050004 20000D90
	v_mul_f32_e64 v5, -v145, s6                                // 0000000087F8: D1050005 20000D91
	v_mul_f32_e64 v6, -v146, s6                                // 000000008800: D1050006 20000D92
	v_mul_f32_e64 v7, -v147, s6                                // 000000008808: D1050007 20000D93
	v_exp_f32_e32 v4, v4                                       // 000000008810: 7E084104
	v_exp_f32_e32 v5, v5                                       // 000000008814: 7E0A4105
	v_exp_f32_e32 v6, v6                                       // 000000008818: 7E0C4106
	v_exp_f32_e32 v7, v7                                       // 00000000881C: 7E0E4107
	v_add_f32_e64 v4, v4, 1.0                                  // 000000008820: D1010004 0001E504
	v_add_f32_e64 v5, v5, 1.0                                  // 000000008828: D1010005 0001E505
	v_add_f32_e64 v6, v6, 1.0                                  // 000000008830: D1010006 0001E506
	v_add_f32_e64 v7, v7, 1.0                                  // 000000008838: D1010007 0001E507
	v_rcp_f32_e32 v4, v4                                       // 000000008840: 7E084504
	v_rcp_f32_e32 v5, v5                                       // 000000008844: 7E0A4505
	v_rcp_f32_e32 v6, v6                                       // 000000008848: 7E0C4506
	v_rcp_f32_e32 v7, v7                                       // 00000000884C: 7E0E4507
	v_mul_f32_e32 v144, v144, v4                               // 000000008850: 0B200990
	v_mul_f32_e32 v145, v145, v5                               // 000000008854: 0B220B91
	v_mul_f32_e32 v146, v146, v6                               // 000000008858: 0B240D92
	v_mul_f32_e32 v147, v147, v7                               // 00000000885C: 0B260F93
	v_mul_f32_e32 v144, v144, v240                             // 000000008860: 0B21E190
	v_mul_f32_e32 v145, v145, v241                             // 000000008864: 0B23E391
	v_mul_f32_e32 v146, v146, v242                             // 000000008868: 0B25E592
	v_mul_f32_e32 v147, v147, v243                             // 00000000886C: 0B27E793
	v_mul_f32_e64 v4, -v148, s6                                // 000000008870: D1050004 20000D94
	v_mul_f32_e64 v5, -v149, s6                                // 000000008878: D1050005 20000D95
	v_mul_f32_e64 v6, -v150, s6                                // 000000008880: D1050006 20000D96
	v_mul_f32_e64 v7, -v151, s6                                // 000000008888: D1050007 20000D97
	v_exp_f32_e32 v4, v4                                       // 000000008890: 7E084104
	v_exp_f32_e32 v5, v5                                       // 000000008894: 7E0A4105
	v_exp_f32_e32 v6, v6                                       // 000000008898: 7E0C4106
	v_exp_f32_e32 v7, v7                                       // 00000000889C: 7E0E4107
	v_add_f32_e64 v4, v4, 1.0                                  // 0000000088A0: D1010004 0001E504
	v_add_f32_e64 v5, v5, 1.0                                  // 0000000088A8: D1010005 0001E505
	v_add_f32_e64 v6, v6, 1.0                                  // 0000000088B0: D1010006 0001E506
	v_add_f32_e64 v7, v7, 1.0                                  // 0000000088B8: D1010007 0001E507
	v_rcp_f32_e32 v4, v4                                       // 0000000088C0: 7E084504
	v_rcp_f32_e32 v5, v5                                       // 0000000088C4: 7E0A4505
	v_rcp_f32_e32 v6, v6                                       // 0000000088C8: 7E0C4506
	v_rcp_f32_e32 v7, v7                                       // 0000000088CC: 7E0E4507
	v_mul_f32_e32 v148, v148, v4                               // 0000000088D0: 0B280994
	v_mul_f32_e32 v149, v149, v5                               // 0000000088D4: 0B2A0B95
	v_mul_f32_e32 v150, v150, v6                               // 0000000088D8: 0B2C0D96
	v_mul_f32_e32 v151, v151, v7                               // 0000000088DC: 0B2E0F97
	v_mul_f32_e32 v148, v148, v244                             // 0000000088E0: 0B29E994
	v_mul_f32_e32 v149, v149, v245                             // 0000000088E4: 0B2BEB95
	v_mul_f32_e32 v150, v150, v246                             // 0000000088E8: 0B2DED96
	v_mul_f32_e32 v151, v151, v247                             // 0000000088EC: 0B2FEF97
	v_mul_f32_e64 v4, -v152, s6                                // 0000000088F0: D1050004 20000D98
	v_mul_f32_e64 v5, -v153, s6                                // 0000000088F8: D1050005 20000D99
	v_mul_f32_e64 v6, -v154, s6                                // 000000008900: D1050006 20000D9A
	v_mul_f32_e64 v7, -v155, s6                                // 000000008908: D1050007 20000D9B
	v_exp_f32_e32 v4, v4                                       // 000000008910: 7E084104
	v_exp_f32_e32 v5, v5                                       // 000000008914: 7E0A4105
	v_exp_f32_e32 v6, v6                                       // 000000008918: 7E0C4106
	v_exp_f32_e32 v7, v7                                       // 00000000891C: 7E0E4107
	v_add_f32_e64 v4, v4, 1.0                                  // 000000008920: D1010004 0001E504
	v_add_f32_e64 v5, v5, 1.0                                  // 000000008928: D1010005 0001E505
	v_add_f32_e64 v6, v6, 1.0                                  // 000000008930: D1010006 0001E506
	v_add_f32_e64 v7, v7, 1.0                                  // 000000008938: D1010007 0001E507
	v_rcp_f32_e32 v4, v4                                       // 000000008940: 7E084504
	v_rcp_f32_e32 v5, v5                                       // 000000008944: 7E0A4505
	v_rcp_f32_e32 v6, v6                                       // 000000008948: 7E0C4506
	v_rcp_f32_e32 v7, v7                                       // 00000000894C: 7E0E4507
	v_mul_f32_e32 v152, v152, v4                               // 000000008950: 0B300998
	v_mul_f32_e32 v153, v153, v5                               // 000000008954: 0B320B99
	v_mul_f32_e32 v154, v154, v6                               // 000000008958: 0B340D9A
	v_mul_f32_e32 v155, v155, v7                               // 00000000895C: 0B360F9B
	v_mul_f32_e32 v152, v152, v248                             // 000000008960: 0B31F198
	v_mul_f32_e32 v153, v153, v249                             // 000000008964: 0B33F399
	v_mul_f32_e32 v154, v154, v250                             // 000000008968: 0B35F59A
	v_mul_f32_e32 v155, v155, v251                             // 00000000896C: 0B37F79B

0000000000008970 <label_17DC>:
	v_cmp_u_f32_e64 s[46:47], v60, v60                         // 000000008970: D048002E 0002793C
	v_add3_u32 v16, v60, v19, 1                                // 000000008978: D1FF0010 0206273C
	v_cndmask_b32_e64 v4, v16, v18, s[46:47]                   // 000000008980: D1000004 00BA2510
	v_cmp_u_f32_e64 s[46:47], v61, v61                         // 000000008988: D048002E 00027B3D
	v_add3_u32 v16, v61, v19, 1                                // 000000008990: D1FF0010 0206273D
	v_cndmask_b32_e64 v5, v16, v18, s[46:47]                   // 000000008998: D1000005 00BA2510
	v_perm_b32 v60, v5, v4, s52                                // 0000000089A0: D1ED003C 00D20905
	v_cmp_u_f32_e64 s[46:47], v62, v62                         // 0000000089A8: D048002E 00027D3E
	v_add3_u32 v16, v62, v19, 1                                // 0000000089B0: D1FF0010 0206273E
	v_cndmask_b32_e64 v4, v16, v18, s[46:47]                   // 0000000089B8: D1000004 00BA2510
	v_cmp_u_f32_e64 s[46:47], v63, v63                         // 0000000089C0: D048002E 00027F3F
	v_add3_u32 v16, v63, v19, 1                                // 0000000089C8: D1FF0010 0206273F
	v_cndmask_b32_e64 v5, v16, v18, s[46:47]                   // 0000000089D0: D1000005 00BA2510
	v_perm_b32 v61, v5, v4, s52                                // 0000000089D8: D1ED003D 00D20905
	v_cmp_u_f32_e64 s[46:47], v64, v64                         // 0000000089E0: D048002E 00028140
	v_add3_u32 v16, v64, v19, 1                                // 0000000089E8: D1FF0010 02062740
	v_cndmask_b32_e64 v4, v16, v18, s[46:47]                   // 0000000089F0: D1000004 00BA2510
	v_cmp_u_f32_e64 s[46:47], v65, v65                         // 0000000089F8: D048002E 00028341
	v_add3_u32 v16, v65, v19, 1                                // 000000008A00: D1FF0010 02062741
	v_cndmask_b32_e64 v5, v16, v18, s[46:47]                   // 000000008A08: D1000005 00BA2510
	v_perm_b32 v62, v5, v4, s52                                // 000000008A10: D1ED003E 00D20905
	v_cmp_u_f32_e64 s[46:47], v66, v66                         // 000000008A18: D048002E 00028542
	v_add3_u32 v16, v66, v19, 1                                // 000000008A20: D1FF0010 02062742
	v_cndmask_b32_e64 v4, v16, v18, s[46:47]                   // 000000008A28: D1000004 00BA2510
	v_cmp_u_f32_e64 s[46:47], v67, v67                         // 000000008A30: D048002E 00028743
	v_add3_u32 v16, v67, v19, 1                                // 000000008A38: D1FF0010 02062743
	v_cndmask_b32_e64 v5, v16, v18, s[46:47]                   // 000000008A40: D1000005 00BA2510
	v_perm_b32 v63, v5, v4, s52                                // 000000008A48: D1ED003F 00D20905
	v_cmp_u_f32_e64 s[46:47], v68, v68                         // 000000008A50: D048002E 00028944
	v_add3_u32 v16, v68, v19, 1                                // 000000008A58: D1FF0010 02062744
	v_cndmask_b32_e64 v4, v16, v18, s[46:47]                   // 000000008A60: D1000004 00BA2510
	v_cmp_u_f32_e64 s[46:47], v69, v69                         // 000000008A68: D048002E 00028B45
	v_add3_u32 v16, v69, v19, 1                                // 000000008A70: D1FF0010 02062745
	v_cndmask_b32_e64 v5, v16, v18, s[46:47]                   // 000000008A78: D1000005 00BA2510
	v_perm_b32 v64, v5, v4, s52                                // 000000008A80: D1ED0040 00D20905
	v_cmp_u_f32_e64 s[46:47], v70, v70                         // 000000008A88: D048002E 00028D46
	v_add3_u32 v16, v70, v19, 1                                // 000000008A90: D1FF0010 02062746
	v_cndmask_b32_e64 v4, v16, v18, s[46:47]                   // 000000008A98: D1000004 00BA2510
	v_cmp_u_f32_e64 s[46:47], v71, v71                         // 000000008AA0: D048002E 00028F47
	v_add3_u32 v16, v71, v19, 1                                // 000000008AA8: D1FF0010 02062747
	v_cndmask_b32_e64 v5, v16, v18, s[46:47]                   // 000000008AB0: D1000005 00BA2510
	v_perm_b32 v65, v5, v4, s52                                // 000000008AB8: D1ED0041 00D20905
	v_cmp_u_f32_e64 s[46:47], v72, v72                         // 000000008AC0: D048002E 00029148
	v_add3_u32 v16, v72, v19, 1                                // 000000008AC8: D1FF0010 02062748
	v_cndmask_b32_e64 v4, v16, v18, s[46:47]                   // 000000008AD0: D1000004 00BA2510
	v_cmp_u_f32_e64 s[46:47], v73, v73                         // 000000008AD8: D048002E 00029349
	v_add3_u32 v16, v73, v19, 1                                // 000000008AE0: D1FF0010 02062749
	v_cndmask_b32_e64 v5, v16, v18, s[46:47]                   // 000000008AE8: D1000005 00BA2510
	v_perm_b32 v66, v5, v4, s52                                // 000000008AF0: D1ED0042 00D20905
	v_cmp_u_f32_e64 s[46:47], v74, v74                         // 000000008AF8: D048002E 0002954A
	v_add3_u32 v16, v74, v19, 1                                // 000000008B00: D1FF0010 0206274A
	v_cndmask_b32_e64 v4, v16, v18, s[46:47]                   // 000000008B08: D1000004 00BA2510
	v_cmp_u_f32_e64 s[46:47], v75, v75                         // 000000008B10: D048002E 0002974B
	v_add3_u32 v16, v75, v19, 1                                // 000000008B18: D1FF0010 0206274B
	v_cndmask_b32_e64 v5, v16, v18, s[46:47]                   // 000000008B20: D1000005 00BA2510
	v_perm_b32 v67, v5, v4, s52                                // 000000008B28: D1ED0043 00D20905
	v_cmp_u_f32_e64 s[46:47], v76, v76                         // 000000008B30: D048002E 0002994C
	v_add3_u32 v16, v76, v19, 1                                // 000000008B38: D1FF0010 0206274C
	v_cndmask_b32_e64 v4, v16, v18, s[46:47]                   // 000000008B40: D1000004 00BA2510
	v_cmp_u_f32_e64 s[46:47], v77, v77                         // 000000008B48: D048002E 00029B4D
	v_add3_u32 v16, v77, v19, 1                                // 000000008B50: D1FF0010 0206274D
	v_cndmask_b32_e64 v5, v16, v18, s[46:47]                   // 000000008B58: D1000005 00BA2510
	v_perm_b32 v68, v5, v4, s52                                // 000000008B60: D1ED0044 00D20905
	v_cmp_u_f32_e64 s[46:47], v78, v78                         // 000000008B68: D048002E 00029D4E
	v_add3_u32 v16, v78, v19, 1                                // 000000008B70: D1FF0010 0206274E
	v_cndmask_b32_e64 v4, v16, v18, s[46:47]                   // 000000008B78: D1000004 00BA2510
	v_cmp_u_f32_e64 s[46:47], v79, v79                         // 000000008B80: D048002E 00029F4F
	v_add3_u32 v16, v79, v19, 1                                // 000000008B88: D1FF0010 0206274F
	v_cndmask_b32_e64 v5, v16, v18, s[46:47]                   // 000000008B90: D1000005 00BA2510
	v_perm_b32 v69, v5, v4, s52                                // 000000008B98: D1ED0045 00D20905
	v_cmp_u_f32_e64 s[46:47], v80, v80                         // 000000008BA0: D048002E 0002A150
	v_add3_u32 v16, v80, v19, 1                                // 000000008BA8: D1FF0010 02062750
	v_cndmask_b32_e64 v4, v16, v18, s[46:47]                   // 000000008BB0: D1000004 00BA2510
	v_cmp_u_f32_e64 s[46:47], v81, v81                         // 000000008BB8: D048002E 0002A351
	v_add3_u32 v16, v81, v19, 1                                // 000000008BC0: D1FF0010 02062751
	v_cndmask_b32_e64 v5, v16, v18, s[46:47]                   // 000000008BC8: D1000005 00BA2510
	v_perm_b32 v70, v5, v4, s52                                // 000000008BD0: D1ED0046 00D20905
	v_cmp_u_f32_e64 s[46:47], v82, v82                         // 000000008BD8: D048002E 0002A552
	v_add3_u32 v16, v82, v19, 1                                // 000000008BE0: D1FF0010 02062752
	v_cndmask_b32_e64 v4, v16, v18, s[46:47]                   // 000000008BE8: D1000004 00BA2510
	v_cmp_u_f32_e64 s[46:47], v83, v83                         // 000000008BF0: D048002E 0002A753
	v_add3_u32 v16, v83, v19, 1                                // 000000008BF8: D1FF0010 02062753
	v_cndmask_b32_e64 v5, v16, v18, s[46:47]                   // 000000008C00: D1000005 00BA2510
	v_perm_b32 v71, v5, v4, s52                                // 000000008C08: D1ED0047 00D20905
	v_cmp_u_f32_e64 s[46:47], v84, v84                         // 000000008C10: D048002E 0002A954
	v_add3_u32 v16, v84, v19, 1                                // 000000008C18: D1FF0010 02062754
	v_cndmask_b32_e64 v4, v16, v18, s[46:47]                   // 000000008C20: D1000004 00BA2510
	v_cmp_u_f32_e64 s[46:47], v85, v85                         // 000000008C28: D048002E 0002AB55
	v_add3_u32 v16, v85, v19, 1                                // 000000008C30: D1FF0010 02062755
	v_cndmask_b32_e64 v5, v16, v18, s[46:47]                   // 000000008C38: D1000005 00BA2510
	v_perm_b32 v72, v5, v4, s52                                // 000000008C40: D1ED0048 00D20905
	v_cmp_u_f32_e64 s[46:47], v86, v86                         // 000000008C48: D048002E 0002AD56
	v_add3_u32 v16, v86, v19, 1                                // 000000008C50: D1FF0010 02062756
	v_cndmask_b32_e64 v4, v16, v18, s[46:47]                   // 000000008C58: D1000004 00BA2510
	v_cmp_u_f32_e64 s[46:47], v87, v87                         // 000000008C60: D048002E 0002AF57
	v_add3_u32 v16, v87, v19, 1                                // 000000008C68: D1FF0010 02062757
	v_cndmask_b32_e64 v5, v16, v18, s[46:47]                   // 000000008C70: D1000005 00BA2510
	v_perm_b32 v73, v5, v4, s52                                // 000000008C78: D1ED0049 00D20905
	v_cmp_u_f32_e64 s[46:47], v88, v88                         // 000000008C80: D048002E 0002B158
	v_add3_u32 v16, v88, v19, 1                                // 000000008C88: D1FF0010 02062758
	v_cndmask_b32_e64 v4, v16, v18, s[46:47]                   // 000000008C90: D1000004 00BA2510
	v_cmp_u_f32_e64 s[46:47], v89, v89                         // 000000008C98: D048002E 0002B359
	v_add3_u32 v16, v89, v19, 1                                // 000000008CA0: D1FF0010 02062759
	v_cndmask_b32_e64 v5, v16, v18, s[46:47]                   // 000000008CA8: D1000005 00BA2510
	v_perm_b32 v74, v5, v4, s52                                // 000000008CB0: D1ED004A 00D20905
	v_cmp_u_f32_e64 s[46:47], v90, v90                         // 000000008CB8: D048002E 0002B55A
	v_add3_u32 v16, v90, v19, 1                                // 000000008CC0: D1FF0010 0206275A
	v_cndmask_b32_e64 v4, v16, v18, s[46:47]                   // 000000008CC8: D1000004 00BA2510
	v_cmp_u_f32_e64 s[46:47], v91, v91                         // 000000008CD0: D048002E 0002B75B
	v_add3_u32 v16, v91, v19, 1                                // 000000008CD8: D1FF0010 0206275B
	v_cndmask_b32_e64 v5, v16, v18, s[46:47]                   // 000000008CE0: D1000005 00BA2510
	v_perm_b32 v75, v5, v4, s52                                // 000000008CE8: D1ED004B 00D20905
	v_cmp_u_f32_e64 s[46:47], v92, v92                         // 000000008CF0: D048002E 0002B95C
	v_add3_u32 v16, v92, v19, 1                                // 000000008CF8: D1FF0010 0206275C
	v_cndmask_b32_e64 v4, v16, v18, s[46:47]                   // 000000008D00: D1000004 00BA2510
	v_cmp_u_f32_e64 s[46:47], v93, v93                         // 000000008D08: D048002E 0002BB5D
	v_add3_u32 v16, v93, v19, 1                                // 000000008D10: D1FF0010 0206275D
	v_cndmask_b32_e64 v5, v16, v18, s[46:47]                   // 000000008D18: D1000005 00BA2510
	v_perm_b32 v76, v5, v4, s52                                // 000000008D20: D1ED004C 00D20905
	v_cmp_u_f32_e64 s[46:47], v94, v94                         // 000000008D28: D048002E 0002BD5E
	v_add3_u32 v16, v94, v19, 1                                // 000000008D30: D1FF0010 0206275E
	v_cndmask_b32_e64 v4, v16, v18, s[46:47]                   // 000000008D38: D1000004 00BA2510
	v_cmp_u_f32_e64 s[46:47], v95, v95                         // 000000008D40: D048002E 0002BF5F
	v_add3_u32 v16, v95, v19, 1                                // 000000008D48: D1FF0010 0206275F
	v_cndmask_b32_e64 v5, v16, v18, s[46:47]                   // 000000008D50: D1000005 00BA2510
	v_perm_b32 v77, v5, v4, s52                                // 000000008D58: D1ED004D 00D20905
	v_cmp_u_f32_e64 s[46:47], v96, v96                         // 000000008D60: D048002E 0002C160
	v_add3_u32 v16, v96, v19, 1                                // 000000008D68: D1FF0010 02062760
	v_cndmask_b32_e64 v4, v16, v18, s[46:47]                   // 000000008D70: D1000004 00BA2510
	v_cmp_u_f32_e64 s[46:47], v97, v97                         // 000000008D78: D048002E 0002C361
	v_add3_u32 v16, v97, v19, 1                                // 000000008D80: D1FF0010 02062761
	v_cndmask_b32_e64 v5, v16, v18, s[46:47]                   // 000000008D88: D1000005 00BA2510
	v_perm_b32 v78, v5, v4, s52                                // 000000008D90: D1ED004E 00D20905
	v_cmp_u_f32_e64 s[46:47], v98, v98                         // 000000008D98: D048002E 0002C562
	v_add3_u32 v16, v98, v19, 1                                // 000000008DA0: D1FF0010 02062762
	v_cndmask_b32_e64 v4, v16, v18, s[46:47]                   // 000000008DA8: D1000004 00BA2510
	v_cmp_u_f32_e64 s[46:47], v99, v99                         // 000000008DB0: D048002E 0002C763
	v_add3_u32 v16, v99, v19, 1                                // 000000008DB8: D1FF0010 02062763
	v_cndmask_b32_e64 v5, v16, v18, s[46:47]                   // 000000008DC0: D1000005 00BA2510
	v_perm_b32 v79, v5, v4, s52                                // 000000008DC8: D1ED004F 00D20905
	v_cmp_u_f32_e64 s[46:47], v100, v100                       // 000000008DD0: D048002E 0002C964
	v_add3_u32 v16, v100, v19, 1                               // 000000008DD8: D1FF0010 02062764
	v_cndmask_b32_e64 v4, v16, v18, s[46:47]                   // 000000008DE0: D1000004 00BA2510
	v_cmp_u_f32_e64 s[46:47], v101, v101                       // 000000008DE8: D048002E 0002CB65
	v_add3_u32 v16, v101, v19, 1                               // 000000008DF0: D1FF0010 02062765
	v_cndmask_b32_e64 v5, v16, v18, s[46:47]                   // 000000008DF8: D1000005 00BA2510
	v_perm_b32 v80, v5, v4, s52                                // 000000008E00: D1ED0050 00D20905
	v_cmp_u_f32_e64 s[46:47], v102, v102                       // 000000008E08: D048002E 0002CD66
	v_add3_u32 v16, v102, v19, 1                               // 000000008E10: D1FF0010 02062766
	v_cndmask_b32_e64 v4, v16, v18, s[46:47]                   // 000000008E18: D1000004 00BA2510
	v_cmp_u_f32_e64 s[46:47], v103, v103                       // 000000008E20: D048002E 0002CF67
	v_add3_u32 v16, v103, v19, 1                               // 000000008E28: D1FF0010 02062767
	v_cndmask_b32_e64 v5, v16, v18, s[46:47]                   // 000000008E30: D1000005 00BA2510
	v_perm_b32 v81, v5, v4, s52                                // 000000008E38: D1ED0051 00D20905
	v_cmp_u_f32_e64 s[46:47], v104, v104                       // 000000008E40: D048002E 0002D168
	v_add3_u32 v16, v104, v19, 1                               // 000000008E48: D1FF0010 02062768
	v_cndmask_b32_e64 v4, v16, v18, s[46:47]                   // 000000008E50: D1000004 00BA2510
	v_cmp_u_f32_e64 s[46:47], v105, v105                       // 000000008E58: D048002E 0002D369
	v_add3_u32 v16, v105, v19, 1                               // 000000008E60: D1FF0010 02062769
	v_cndmask_b32_e64 v5, v16, v18, s[46:47]                   // 000000008E68: D1000005 00BA2510
	v_perm_b32 v82, v5, v4, s52                                // 000000008E70: D1ED0052 00D20905
	v_cmp_u_f32_e64 s[46:47], v106, v106                       // 000000008E78: D048002E 0002D56A
	v_add3_u32 v16, v106, v19, 1                               // 000000008E80: D1FF0010 0206276A
	v_cndmask_b32_e64 v4, v16, v18, s[46:47]                   // 000000008E88: D1000004 00BA2510
	v_cmp_u_f32_e64 s[46:47], v107, v107                       // 000000008E90: D048002E 0002D76B
	v_add3_u32 v16, v107, v19, 1                               // 000000008E98: D1FF0010 0206276B
	v_cndmask_b32_e64 v5, v16, v18, s[46:47]                   // 000000008EA0: D1000005 00BA2510
	v_perm_b32 v83, v5, v4, s52                                // 000000008EA8: D1ED0053 00D20905
	v_cmp_u_f32_e64 s[46:47], v108, v108                       // 000000008EB0: D048002E 0002D96C
	v_add3_u32 v16, v108, v19, 1                               // 000000008EB8: D1FF0010 0206276C
	v_cndmask_b32_e64 v4, v16, v18, s[46:47]                   // 000000008EC0: D1000004 00BA2510
	v_cmp_u_f32_e64 s[46:47], v109, v109                       // 000000008EC8: D048002E 0002DB6D
	v_add3_u32 v16, v109, v19, 1                               // 000000008ED0: D1FF0010 0206276D
	v_cndmask_b32_e64 v5, v16, v18, s[46:47]                   // 000000008ED8: D1000005 00BA2510
	v_perm_b32 v84, v5, v4, s52                                // 000000008EE0: D1ED0054 00D20905
	v_cmp_u_f32_e64 s[46:47], v110, v110                       // 000000008EE8: D048002E 0002DD6E
	v_add3_u32 v16, v110, v19, 1                               // 000000008EF0: D1FF0010 0206276E
	v_cndmask_b32_e64 v4, v16, v18, s[46:47]                   // 000000008EF8: D1000004 00BA2510
	v_cmp_u_f32_e64 s[46:47], v111, v111                       // 000000008F00: D048002E 0002DF6F
	v_add3_u32 v16, v111, v19, 1                               // 000000008F08: D1FF0010 0206276F
	v_cndmask_b32_e64 v5, v16, v18, s[46:47]                   // 000000008F10: D1000005 00BA2510
	v_perm_b32 v85, v5, v4, s52                                // 000000008F18: D1ED0055 00D20905
	v_cmp_u_f32_e64 s[46:47], v112, v112                       // 000000008F20: D048002E 0002E170
	v_add3_u32 v16, v112, v19, 1                               // 000000008F28: D1FF0010 02062770
	v_cndmask_b32_e64 v4, v16, v18, s[46:47]                   // 000000008F30: D1000004 00BA2510
	v_cmp_u_f32_e64 s[46:47], v113, v113                       // 000000008F38: D048002E 0002E371
	v_add3_u32 v16, v113, v19, 1                               // 000000008F40: D1FF0010 02062771
	v_cndmask_b32_e64 v5, v16, v18, s[46:47]                   // 000000008F48: D1000005 00BA2510
	v_perm_b32 v86, v5, v4, s52                                // 000000008F50: D1ED0056 00D20905
	v_cmp_u_f32_e64 s[46:47], v114, v114                       // 000000008F58: D048002E 0002E572
	v_add3_u32 v16, v114, v19, 1                               // 000000008F60: D1FF0010 02062772
	v_cndmask_b32_e64 v4, v16, v18, s[46:47]                   // 000000008F68: D1000004 00BA2510
	v_cmp_u_f32_e64 s[46:47], v115, v115                       // 000000008F70: D048002E 0002E773
	v_add3_u32 v16, v115, v19, 1                               // 000000008F78: D1FF0010 02062773
	v_cndmask_b32_e64 v5, v16, v18, s[46:47]                   // 000000008F80: D1000005 00BA2510
	v_perm_b32 v87, v5, v4, s52                                // 000000008F88: D1ED0057 00D20905
	v_cmp_u_f32_e64 s[46:47], v116, v116                       // 000000008F90: D048002E 0002E974
	v_add3_u32 v16, v116, v19, 1                               // 000000008F98: D1FF0010 02062774
	v_cndmask_b32_e64 v4, v16, v18, s[46:47]                   // 000000008FA0: D1000004 00BA2510
	v_cmp_u_f32_e64 s[46:47], v117, v117                       // 000000008FA8: D048002E 0002EB75
	v_add3_u32 v16, v117, v19, 1                               // 000000008FB0: D1FF0010 02062775
	v_cndmask_b32_e64 v5, v16, v18, s[46:47]                   // 000000008FB8: D1000005 00BA2510
	v_perm_b32 v88, v5, v4, s52                                // 000000008FC0: D1ED0058 00D20905
	v_cmp_u_f32_e64 s[46:47], v118, v118                       // 000000008FC8: D048002E 0002ED76
	v_add3_u32 v16, v118, v19, 1                               // 000000008FD0: D1FF0010 02062776
	v_cndmask_b32_e64 v4, v16, v18, s[46:47]                   // 000000008FD8: D1000004 00BA2510
	v_cmp_u_f32_e64 s[46:47], v119, v119                       // 000000008FE0: D048002E 0002EF77
	v_add3_u32 v16, v119, v19, 1                               // 000000008FE8: D1FF0010 02062777
	v_cndmask_b32_e64 v5, v16, v18, s[46:47]                   // 000000008FF0: D1000005 00BA2510
	v_perm_b32 v89, v5, v4, s52                                // 000000008FF8: D1ED0059 00D20905
	v_cmp_u_f32_e64 s[46:47], v120, v120                       // 000000009000: D048002E 0002F178
	v_add3_u32 v16, v120, v19, 1                               // 000000009008: D1FF0010 02062778
	v_cndmask_b32_e64 v4, v16, v18, s[46:47]                   // 000000009010: D1000004 00BA2510
	v_cmp_u_f32_e64 s[46:47], v121, v121                       // 000000009018: D048002E 0002F379
	v_add3_u32 v16, v121, v19, 1                               // 000000009020: D1FF0010 02062779
	v_cndmask_b32_e64 v5, v16, v18, s[46:47]                   // 000000009028: D1000005 00BA2510
	v_perm_b32 v90, v5, v4, s52                                // 000000009030: D1ED005A 00D20905
	v_cmp_u_f32_e64 s[46:47], v122, v122                       // 000000009038: D048002E 0002F57A
	v_add3_u32 v16, v122, v19, 1                               // 000000009040: D1FF0010 0206277A
	v_cndmask_b32_e64 v4, v16, v18, s[46:47]                   // 000000009048: D1000004 00BA2510
	v_cmp_u_f32_e64 s[46:47], v123, v123                       // 000000009050: D048002E 0002F77B
	v_add3_u32 v16, v123, v19, 1                               // 000000009058: D1FF0010 0206277B
	v_cndmask_b32_e64 v5, v16, v18, s[46:47]                   // 000000009060: D1000005 00BA2510
	v_perm_b32 v91, v5, v4, s52                                // 000000009068: D1ED005B 00D20905
	v_cmp_u_f32_e64 s[46:47], v124, v124                       // 000000009070: D048002E 0002F97C
	v_add3_u32 v16, v124, v19, 1                               // 000000009078: D1FF0010 0206277C
	v_cndmask_b32_e64 v4, v16, v18, s[46:47]                   // 000000009080: D1000004 00BA2510
	v_cmp_u_f32_e64 s[46:47], v125, v125                       // 000000009088: D048002E 0002FB7D
	v_add3_u32 v16, v125, v19, 1                               // 000000009090: D1FF0010 0206277D
	v_cndmask_b32_e64 v5, v16, v18, s[46:47]                   // 000000009098: D1000005 00BA2510
	v_perm_b32 v92, v5, v4, s52                                // 0000000090A0: D1ED005C 00D20905
	v_cmp_u_f32_e64 s[46:47], v126, v126                       // 0000000090A8: D048002E 0002FD7E
	v_add3_u32 v16, v126, v19, 1                               // 0000000090B0: D1FF0010 0206277E
	v_cndmask_b32_e64 v4, v16, v18, s[46:47]                   // 0000000090B8: D1000004 00BA2510
	v_cmp_u_f32_e64 s[46:47], v127, v127                       // 0000000090C0: D048002E 0002FF7F
	v_add3_u32 v16, v127, v19, 1                               // 0000000090C8: D1FF0010 0206277F
	v_cndmask_b32_e64 v5, v16, v18, s[46:47]                   // 0000000090D0: D1000005 00BA2510
	v_perm_b32 v93, v5, v4, s52                                // 0000000090D8: D1ED005D 00D20905
	v_cmp_u_f32_e64 s[46:47], v128, v128                       // 0000000090E0: D048002E 00030180
	v_add3_u32 v16, v128, v19, 1                               // 0000000090E8: D1FF0010 02062780
	v_cndmask_b32_e64 v4, v16, v18, s[46:47]                   // 0000000090F0: D1000004 00BA2510
	v_cmp_u_f32_e64 s[46:47], v129, v129                       // 0000000090F8: D048002E 00030381
	v_add3_u32 v16, v129, v19, 1                               // 000000009100: D1FF0010 02062781
	v_cndmask_b32_e64 v5, v16, v18, s[46:47]                   // 000000009108: D1000005 00BA2510
	v_perm_b32 v94, v5, v4, s52                                // 000000009110: D1ED005E 00D20905
	v_cmp_u_f32_e64 s[46:47], v130, v130                       // 000000009118: D048002E 00030582
	v_add3_u32 v16, v130, v19, 1                               // 000000009120: D1FF0010 02062782
	v_cndmask_b32_e64 v4, v16, v18, s[46:47]                   // 000000009128: D1000004 00BA2510
	v_cmp_u_f32_e64 s[46:47], v131, v131                       // 000000009130: D048002E 00030783
	v_add3_u32 v16, v131, v19, 1                               // 000000009138: D1FF0010 02062783
	v_cndmask_b32_e64 v5, v16, v18, s[46:47]                   // 000000009140: D1000005 00BA2510
	v_perm_b32 v95, v5, v4, s52                                // 000000009148: D1ED005F 00D20905
	v_cmp_u_f32_e64 s[46:47], v132, v132                       // 000000009150: D048002E 00030984
	v_add3_u32 v16, v132, v19, 1                               // 000000009158: D1FF0010 02062784
	v_cndmask_b32_e64 v4, v16, v18, s[46:47]                   // 000000009160: D1000004 00BA2510
	v_cmp_u_f32_e64 s[46:47], v133, v133                       // 000000009168: D048002E 00030B85
	v_add3_u32 v16, v133, v19, 1                               // 000000009170: D1FF0010 02062785
	v_cndmask_b32_e64 v5, v16, v18, s[46:47]                   // 000000009178: D1000005 00BA2510
	v_perm_b32 v96, v5, v4, s52                                // 000000009180: D1ED0060 00D20905
	v_cmp_u_f32_e64 s[46:47], v134, v134                       // 000000009188: D048002E 00030D86
	v_add3_u32 v16, v134, v19, 1                               // 000000009190: D1FF0010 02062786
	v_cndmask_b32_e64 v4, v16, v18, s[46:47]                   // 000000009198: D1000004 00BA2510
	v_cmp_u_f32_e64 s[46:47], v135, v135                       // 0000000091A0: D048002E 00030F87
	v_add3_u32 v16, v135, v19, 1                               // 0000000091A8: D1FF0010 02062787
	v_cndmask_b32_e64 v5, v16, v18, s[46:47]                   // 0000000091B0: D1000005 00BA2510
	v_perm_b32 v97, v5, v4, s52                                // 0000000091B8: D1ED0061 00D20905
	v_cmp_u_f32_e64 s[46:47], v136, v136                       // 0000000091C0: D048002E 00031188
	v_add3_u32 v16, v136, v19, 1                               // 0000000091C8: D1FF0010 02062788
	v_cndmask_b32_e64 v4, v16, v18, s[46:47]                   // 0000000091D0: D1000004 00BA2510
	v_cmp_u_f32_e64 s[46:47], v137, v137                       // 0000000091D8: D048002E 00031389
	v_add3_u32 v16, v137, v19, 1                               // 0000000091E0: D1FF0010 02062789
	v_cndmask_b32_e64 v5, v16, v18, s[46:47]                   // 0000000091E8: D1000005 00BA2510
	v_perm_b32 v98, v5, v4, s52                                // 0000000091F0: D1ED0062 00D20905
	v_cmp_u_f32_e64 s[46:47], v138, v138                       // 0000000091F8: D048002E 0003158A
	v_add3_u32 v16, v138, v19, 1                               // 000000009200: D1FF0010 0206278A
	v_cndmask_b32_e64 v4, v16, v18, s[46:47]                   // 000000009208: D1000004 00BA2510
	v_cmp_u_f32_e64 s[46:47], v139, v139                       // 000000009210: D048002E 0003178B
	v_add3_u32 v16, v139, v19, 1                               // 000000009218: D1FF0010 0206278B
	v_cndmask_b32_e64 v5, v16, v18, s[46:47]                   // 000000009220: D1000005 00BA2510
	v_perm_b32 v99, v5, v4, s52                                // 000000009228: D1ED0063 00D20905
	v_cmp_u_f32_e64 s[46:47], v140, v140                       // 000000009230: D048002E 0003198C
	v_add3_u32 v16, v140, v19, 1                               // 000000009238: D1FF0010 0206278C
	v_cndmask_b32_e64 v4, v16, v18, s[46:47]                   // 000000009240: D1000004 00BA2510
	v_cmp_u_f32_e64 s[46:47], v141, v141                       // 000000009248: D048002E 00031B8D
	v_add3_u32 v16, v141, v19, 1                               // 000000009250: D1FF0010 0206278D
	v_cndmask_b32_e64 v5, v16, v18, s[46:47]                   // 000000009258: D1000005 00BA2510
	v_perm_b32 v100, v5, v4, s52                               // 000000009260: D1ED0064 00D20905
	v_cmp_u_f32_e64 s[46:47], v142, v142                       // 000000009268: D048002E 00031D8E
	v_add3_u32 v16, v142, v19, 1                               // 000000009270: D1FF0010 0206278E
	v_cndmask_b32_e64 v4, v16, v18, s[46:47]                   // 000000009278: D1000004 00BA2510
	v_cmp_u_f32_e64 s[46:47], v143, v143                       // 000000009280: D048002E 00031F8F
	v_add3_u32 v16, v143, v19, 1                               // 000000009288: D1FF0010 0206278F
	v_cndmask_b32_e64 v5, v16, v18, s[46:47]                   // 000000009290: D1000005 00BA2510
	v_perm_b32 v101, v5, v4, s52                               // 000000009298: D1ED0065 00D20905
	v_cmp_u_f32_e64 s[46:47], v144, v144                       // 0000000092A0: D048002E 00032190
	v_add3_u32 v16, v144, v19, 1                               // 0000000092A8: D1FF0010 02062790
	v_cndmask_b32_e64 v4, v16, v18, s[46:47]                   // 0000000092B0: D1000004 00BA2510
	v_cmp_u_f32_e64 s[46:47], v145, v145                       // 0000000092B8: D048002E 00032391
	v_add3_u32 v16, v145, v19, 1                               // 0000000092C0: D1FF0010 02062791
	v_cndmask_b32_e64 v5, v16, v18, s[46:47]                   // 0000000092C8: D1000005 00BA2510
	v_perm_b32 v102, v5, v4, s52                               // 0000000092D0: D1ED0066 00D20905
	v_cmp_u_f32_e64 s[46:47], v146, v146                       // 0000000092D8: D048002E 00032592
	v_add3_u32 v16, v146, v19, 1                               // 0000000092E0: D1FF0010 02062792
	v_cndmask_b32_e64 v4, v16, v18, s[46:47]                   // 0000000092E8: D1000004 00BA2510
	v_cmp_u_f32_e64 s[46:47], v147, v147                       // 0000000092F0: D048002E 00032793
	v_add3_u32 v16, v147, v19, 1                               // 0000000092F8: D1FF0010 02062793
	v_cndmask_b32_e64 v5, v16, v18, s[46:47]                   // 000000009300: D1000005 00BA2510
	v_perm_b32 v103, v5, v4, s52                               // 000000009308: D1ED0067 00D20905
	v_cmp_u_f32_e64 s[46:47], v148, v148                       // 000000009310: D048002E 00032994
	v_add3_u32 v16, v148, v19, 1                               // 000000009318: D1FF0010 02062794
	v_cndmask_b32_e64 v4, v16, v18, s[46:47]                   // 000000009320: D1000004 00BA2510
	v_cmp_u_f32_e64 s[46:47], v149, v149                       // 000000009328: D048002E 00032B95
	v_add3_u32 v16, v149, v19, 1                               // 000000009330: D1FF0010 02062795
	v_cndmask_b32_e64 v5, v16, v18, s[46:47]                   // 000000009338: D1000005 00BA2510
	v_perm_b32 v104, v5, v4, s52                               // 000000009340: D1ED0068 00D20905
	v_cmp_u_f32_e64 s[46:47], v150, v150                       // 000000009348: D048002E 00032D96
	v_add3_u32 v16, v150, v19, 1                               // 000000009350: D1FF0010 02062796
	v_cndmask_b32_e64 v4, v16, v18, s[46:47]                   // 000000009358: D1000004 00BA2510
	v_cmp_u_f32_e64 s[46:47], v151, v151                       // 000000009360: D048002E 00032F97
	v_add3_u32 v16, v151, v19, 1                               // 000000009368: D1FF0010 02062797
	v_cndmask_b32_e64 v5, v16, v18, s[46:47]                   // 000000009370: D1000005 00BA2510
	v_perm_b32 v105, v5, v4, s52                               // 000000009378: D1ED0069 00D20905
	v_cmp_u_f32_e64 s[46:47], v152, v152                       // 000000009380: D048002E 00033198
	v_add3_u32 v16, v152, v19, 1                               // 000000009388: D1FF0010 02062798
	v_cndmask_b32_e64 v4, v16, v18, s[46:47]                   // 000000009390: D1000004 00BA2510
	v_cmp_u_f32_e64 s[46:47], v153, v153                       // 000000009398: D048002E 00033399
	v_add3_u32 v16, v153, v19, 1                               // 0000000093A0: D1FF0010 02062799
	v_cndmask_b32_e64 v5, v16, v18, s[46:47]                   // 0000000093A8: D1000005 00BA2510
	v_perm_b32 v106, v5, v4, s52                               // 0000000093B0: D1ED006A 00D20905
	v_cmp_u_f32_e64 s[46:47], v154, v154                       // 0000000093B8: D048002E 0003359A
	v_add3_u32 v16, v154, v19, 1                               // 0000000093C0: D1FF0010 0206279A
	v_cndmask_b32_e64 v4, v16, v18, s[46:47]                   // 0000000093C8: D1000004 00BA2510
	v_cmp_u_f32_e64 s[46:47], v155, v155                       // 0000000093D0: D048002E 0003379B
	v_add3_u32 v16, v155, v19, 1                               // 0000000093D8: D1FF0010 0206279B
	v_cndmask_b32_e64 v5, v16, v18, s[46:47]                   // 0000000093E0: D1000005 00BA2510
	v_perm_b32 v107, v5, v4, s52                               // 0000000093E8: D1ED006B 00D20905
	ds_write_b64 v20, v[60:61]                                 // 0000000093F0: D89A0000 00003C14
	ds_write_b64 v20, v[62:63] offset:17408                    // 0000000093F8: D89A4400 00003E14
	ds_write_b64 v20, v[64:65] offset:34816                    // 000000009400: D89A8800 00004014
	ds_write_b64 v20, v[66:67] offset:2176                     // 000000009408: D89A0880 00004214
	ds_write_b64 v20, v[68:69] offset:19584                    // 000000009410: D89A4C80 00004414
	ds_write_b64 v20, v[70:71] offset:36992                    // 000000009418: D89A9080 00004614
	ds_write_b64 v20, v[72:73] offset:4352                     // 000000009420: D89A1100 00004814
	ds_write_b64 v20, v[74:75] offset:21760                    // 000000009428: D89A5500 00004A14
	ds_write_b64 v20, v[76:77] offset:39168                    // 000000009430: D89A9900 00004C14
	ds_write_b64 v20, v[78:79] offset:6528                     // 000000009438: D89A1980 00004E14
	ds_write_b64 v20, v[80:81] offset:23936                    // 000000009440: D89A5D80 00005014
	ds_write_b64 v20, v[82:83] offset:41344                    // 000000009448: D89AA180 00005214
	ds_write_b64 v20, v[84:85] offset:8704                     // 000000009450: D89A2200 00005414
	ds_write_b64 v20, v[86:87] offset:26112                    // 000000009458: D89A6600 00005614
	ds_write_b64 v20, v[88:89] offset:43520                    // 000000009460: D89AAA00 00005814
	ds_write_b64 v20, v[90:91] offset:10880                    // 000000009468: D89A2A80 00005A14
	ds_write_b64 v20, v[92:93] offset:28288                    // 000000009470: D89A6E80 00005C14
	ds_write_b64 v20, v[94:95] offset:45696                    // 000000009478: D89AB280 00005E14
	ds_write_b64 v20, v[96:97] offset:13056                    // 000000009480: D89A3300 00006014
	ds_write_b64 v20, v[98:99] offset:30464                    // 000000009488: D89A7700 00006214
	ds_write_b64 v20, v[100:101] offset:47872                  // 000000009490: D89ABB00 00006414
	ds_write_b64 v20, v[102:103] offset:15232                  // 000000009498: D89A3B80 00006614
	ds_write_b64 v20, v[104:105] offset:32640                  // 0000000094A0: D89A7F80 00006814
	ds_write_b64 v20, v[106:107] offset:50048                  // 0000000094A8: D89AC380 00006A14
	v_lshrrev_b32_e32 v4, 5, v0                                // 0000000094B0: 20080085
	v_xor_b32_e32 v5, 1, v4                                    // 0000000094B4: 2A0A0881
	s_mul_i32 s60, s65, 2                                      // 0000000094B8: 923C8241
	s_cmp_eq_u32 s88, 0                                        // 0000000094BC: BF068058
	s_cselect_b32 s61, 1, 4                                    // 0000000094C0: 853D8481
	s_mul_i32 s60, s61, s60                                    // 0000000094C4: 923C3C3D
	v_readlane_b32 s82, v3, 0                                  // 0000000094C8: D2890052 00010103
	s_lshr_b32 s61, s82, 24                                    // 0000000094D0: 8F3D9852
	s_and_b32 s82, s82, 0xffffff                               // 0000000094D4: 8652FF52 00FFFFFF
	s_mul_i32 s82, s82, s71                                    // 0000000094DC: 92524752
	s_mul_i32 s61, s60, s61                                    // 0000000094E0: 923D3D3C
	s_add_u32 s82, s82, s61                                    // 0000000094E4: 80523D52
	v_mul_lo_u32 v6, v5, s82                                   // 0000000094E8: D2850006 0000A505
	v_readlane_b32 s82, v3, 1                                  // 0000000094F0: D2890052 00010303
	s_lshr_b32 s61, s82, 24                                    // 0000000094F8: 8F3D9852
	s_and_b32 s82, s82, 0xffffff                               // 0000000094FC: 8652FF52 00FFFFFF
	s_mul_i32 s82, s82, s71                                    // 000000009504: 92524752
	s_mul_i32 s61, s60, s61                                    // 000000009508: 923D3D3C
	s_add_u32 s82, s82, s61                                    // 00000000950C: 80523D52
	v_mul_lo_u32 v7, v4, s82                                   // 000000009510: D2850007 0000A504
	v_add_u32_e32 v43, v6, v7                                  // 000000009518: 68560F06
	v_readlane_b32 s82, v3, 2                                  // 00000000951C: D2890052 00010503
	s_lshr_b32 s61, s82, 24                                    // 000000009524: 8F3D9852
	s_and_b32 s82, s82, 0xffffff                               // 000000009528: 8652FF52 00FFFFFF
	s_mul_i32 s82, s82, s71                                    // 000000009530: 92524752
	s_mul_i32 s61, s60, s61                                    // 000000009534: 923D3D3C
	s_add_u32 s82, s82, s61                                    // 000000009538: 80523D52
	v_mul_lo_u32 v6, v5, s82                                   // 00000000953C: D2850006 0000A505
	v_readlane_b32 s82, v3, 3                                  // 000000009544: D2890052 00010703
	s_lshr_b32 s61, s82, 24                                    // 00000000954C: 8F3D9852
	s_and_b32 s82, s82, 0xffffff                               // 000000009550: 8652FF52 00FFFFFF
	s_mul_i32 s82, s82, s71                                    // 000000009558: 92524752
	s_mul_i32 s61, s60, s61                                    // 00000000955C: 923D3D3C
	s_add_u32 s82, s82, s61                                    // 000000009560: 80523D52
	v_mul_lo_u32 v7, v4, s82                                   // 000000009564: D2850007 0000A504
	v_add_u32_e32 v44, v6, v7                                  // 00000000956C: 68580F06
	v_readlane_b32 s82, v3, 4                                  // 000000009570: D2890052 00010903
	s_lshr_b32 s61, s82, 24                                    // 000000009578: 8F3D9852
	s_and_b32 s82, s82, 0xffffff                               // 00000000957C: 8652FF52 00FFFFFF
	s_mul_i32 s82, s82, s71                                    // 000000009584: 92524752
	s_mul_i32 s61, s60, s61                                    // 000000009588: 923D3D3C
	s_add_u32 s82, s82, s61                                    // 00000000958C: 80523D52
	v_mul_lo_u32 v6, v5, s82                                   // 000000009590: D2850006 0000A505
	v_readlane_b32 s82, v3, 5                                  // 000000009598: D2890052 00010B03
	s_lshr_b32 s61, s82, 24                                    // 0000000095A0: 8F3D9852
	s_and_b32 s82, s82, 0xffffff                               // 0000000095A4: 8652FF52 00FFFFFF
	s_mul_i32 s82, s82, s71                                    // 0000000095AC: 92524752
	s_mul_i32 s61, s60, s61                                    // 0000000095B0: 923D3D3C
	s_add_u32 s82, s82, s61                                    // 0000000095B4: 80523D52
	v_mul_lo_u32 v7, v4, s82                                   // 0000000095B8: D2850007 0000A504
	v_add_u32_e32 v45, v6, v7                                  // 0000000095C0: 685A0F06
	v_readlane_b32 s82, v3, 6                                  // 0000000095C4: D2890052 00010D03
	s_lshr_b32 s61, s82, 24                                    // 0000000095CC: 8F3D9852
	s_and_b32 s82, s82, 0xffffff                               // 0000000095D0: 8652FF52 00FFFFFF
	s_mul_i32 s82, s82, s71                                    // 0000000095D8: 92524752
	s_mul_i32 s61, s60, s61                                    // 0000000095DC: 923D3D3C
	s_add_u32 s82, s82, s61                                    // 0000000095E0: 80523D52
	v_mul_lo_u32 v6, v5, s82                                   // 0000000095E4: D2850006 0000A505
	v_readlane_b32 s82, v3, 7                                  // 0000000095EC: D2890052 00010F03
	s_lshr_b32 s61, s82, 24                                    // 0000000095F4: 8F3D9852
	s_and_b32 s82, s82, 0xffffff                               // 0000000095F8: 8652FF52 00FFFFFF
	s_mul_i32 s82, s82, s71                                    // 000000009600: 92524752
	s_mul_i32 s61, s60, s61                                    // 000000009604: 923D3D3C
	s_add_u32 s82, s82, s61                                    // 000000009608: 80523D52
	v_mul_lo_u32 v7, v4, s82                                   // 00000000960C: D2850007 0000A504
	v_add_u32_e32 v46, v6, v7                                  // 000000009614: 685C0F06
	v_readlane_b32 s82, v3, 8                                  // 000000009618: D2890052 00011103
	s_lshr_b32 s61, s82, 24                                    // 000000009620: 8F3D9852
	s_and_b32 s82, s82, 0xffffff                               // 000000009624: 8652FF52 00FFFFFF
	s_mul_i32 s82, s82, s71                                    // 00000000962C: 92524752
	s_mul_i32 s61, s60, s61                                    // 000000009630: 923D3D3C
	s_add_u32 s82, s82, s61                                    // 000000009634: 80523D52
	v_mul_lo_u32 v6, v5, s82                                   // 000000009638: D2850006 0000A505
	v_readlane_b32 s82, v3, 9                                  // 000000009640: D2890052 00011303
	s_lshr_b32 s61, s82, 24                                    // 000000009648: 8F3D9852
	s_and_b32 s82, s82, 0xffffff                               // 00000000964C: 8652FF52 00FFFFFF
	s_mul_i32 s82, s82, s71                                    // 000000009654: 92524752
	s_mul_i32 s61, s60, s61                                    // 000000009658: 923D3D3C
	s_add_u32 s82, s82, s61                                    // 00000000965C: 80523D52
	v_mul_lo_u32 v7, v4, s82                                   // 000000009660: D2850007 0000A504
	v_add_u32_e32 v47, v6, v7                                  // 000000009668: 685E0F06
	v_readlane_b32 s82, v3, 10                                 // 00000000966C: D2890052 00011503
	s_lshr_b32 s61, s82, 24                                    // 000000009674: 8F3D9852
	s_and_b32 s82, s82, 0xffffff                               // 000000009678: 8652FF52 00FFFFFF
	s_mul_i32 s82, s82, s71                                    // 000000009680: 92524752
	s_mul_i32 s61, s60, s61                                    // 000000009684: 923D3D3C
	s_add_u32 s82, s82, s61                                    // 000000009688: 80523D52
	v_mul_lo_u32 v6, v5, s82                                   // 00000000968C: D2850006 0000A505
	v_readlane_b32 s82, v3, 11                                 // 000000009694: D2890052 00011703
	s_lshr_b32 s61, s82, 24                                    // 00000000969C: 8F3D9852
	s_and_b32 s82, s82, 0xffffff                               // 0000000096A0: 8652FF52 00FFFFFF
	s_mul_i32 s82, s82, s71                                    // 0000000096A8: 92524752
	s_mul_i32 s61, s60, s61                                    // 0000000096AC: 923D3D3C
	s_add_u32 s82, s82, s61                                    // 0000000096B0: 80523D52
	v_mul_lo_u32 v7, v4, s82                                   // 0000000096B4: D2850007 0000A504
	v_add_u32_e32 v48, v6, v7                                  // 0000000096BC: 68600F06
	v_and_b32_e32 v4, 31, v0                                   // 0000000096C0: 2608009F
	v_lshrrev_b32_e32 v4, 1, v4                                // 0000000096C4: 20080881
	s_cmp_eq_u32 s88, 0                                        // 0000000096C8: BF068058
	s_cselect_b32 s61, 2, 4                                    // 0000000096CC: 853D8482
	v_mul_lo_u32 v4, v4, s61                                   // 0000000096D0: D2850004 00007B04
	v_and_b32_e64 v5, v0, 1                                    // 0000000096D8: D1130005 00010300
	v_add_u32_e32 v4, v4, v5                                   // 0000000096E0: 68080B04
	v_lshlrev_b32_e32 v4, 2, v4                                // 0000000096E4: 24080882
	v_add_u32_e32 v43, v43, v4                                 // 0000000096E8: 6856092B
	v_add_u32_e32 v44, v44, v4                                 // 0000000096EC: 6858092C
	v_add_u32_e32 v45, v45, v4                                 // 0000000096F0: 685A092D
	v_add_u32_e32 v46, v46, v4                                 // 0000000096F4: 685C092E
	v_add_u32_e32 v47, v47, v4                                 // 0000000096F8: 685E092F
	v_add_u32_e32 v48, v48, v4                                 // 0000000096FC: 68600930
	s_waitcnt lgkmcnt(0)                                       // 000000009700: BF8CC07F
	s_barrier                                                  // 000000009704: BF8A0000
	ds_read_b32 v60, v21                                       // 000000009708: D86C0000 3C000015
	ds_read_b32 v61, v21 offset:64                             // 000000009710: D86C0040 3D000015
	ds_read_b32 v62, v21 offset:2176                           // 000000009718: D86C0880 3E000015
	ds_read_b32 v63, v21 offset:2240                           // 000000009720: D86C08C0 3F000015
	ds_read_b32 v64, v21 offset:4352                           // 000000009728: D86C1100 40000015
	ds_read_b32 v65, v21 offset:4416                           // 000000009730: D86C1140 41000015
	ds_read_b32 v66, v21 offset:6528                           // 000000009738: D86C1980 42000015
	ds_read_b32 v67, v21 offset:6592                           // 000000009740: D86C19C0 43000015
	ds_read_b32 v68, v21 offset:8704                           // 000000009748: D86C2200 44000015
	ds_read_b32 v69, v21 offset:8768                           // 000000009750: D86C2240 45000015
	ds_read_b32 v70, v21 offset:10880                          // 000000009758: D86C2A80 46000015
	ds_read_b32 v71, v21 offset:10944                          // 000000009760: D86C2AC0 47000015
	ds_read_b32 v72, v21 offset:13056                          // 000000009768: D86C3300 48000015
	ds_read_b32 v73, v21 offset:13120                          // 000000009770: D86C3340 49000015
	ds_read_b32 v74, v21 offset:15232                          // 000000009778: D86C3B80 4A000015
	ds_read_b32 v75, v21 offset:15296                          // 000000009780: D86C3BC0 4B000015
	ds_read_b32 v76, v21 offset:17408                          // 000000009788: D86C4400 4C000015
	ds_read_b32 v77, v21 offset:17472                          // 000000009790: D86C4440 4D000015
	ds_read_b32 v78, v21 offset:19584                          // 000000009798: D86C4C80 4E000015
	ds_read_b32 v79, v21 offset:19648                          // 0000000097A0: D86C4CC0 4F000015
	ds_read_b32 v80, v21 offset:21760                          // 0000000097A8: D86C5500 50000015
	ds_read_b32 v81, v21 offset:21824                          // 0000000097B0: D86C5540 51000015
	ds_read_b32 v82, v21 offset:23936                          // 0000000097B8: D86C5D80 52000015
	ds_read_b32 v83, v21 offset:24000                          // 0000000097C0: D86C5DC0 53000015
	ds_read_b32 v84, v21 offset:26112                          // 0000000097C8: D86C6600 54000015
	ds_read_b32 v85, v21 offset:26176                          // 0000000097D0: D86C6640 55000015
	ds_read_b32 v86, v21 offset:28288                          // 0000000097D8: D86C6E80 56000015
	ds_read_b32 v87, v21 offset:28352                          // 0000000097E0: D86C6EC0 57000015
	ds_read_b32 v88, v21 offset:30464                          // 0000000097E8: D86C7700 58000015
	ds_read_b32 v89, v21 offset:30528                          // 0000000097F0: D86C7740 59000015
	ds_read_b32 v90, v21 offset:32640                          // 0000000097F8: D86C7F80 5A000015
	ds_read_b32 v91, v21 offset:32704                          // 000000009800: D86C7FC0 5B000015
	ds_read_b32 v92, v21 offset:34816                          // 000000009808: D86C8800 5C000015
	ds_read_b32 v93, v21 offset:34880                          // 000000009810: D86C8840 5D000015
	ds_read_b32 v94, v21 offset:36992                          // 000000009818: D86C9080 5E000015
	ds_read_b32 v95, v21 offset:37056                          // 000000009820: D86C90C0 5F000015
	ds_read_b32 v96, v21 offset:39168                          // 000000009828: D86C9900 60000015
	ds_read_b32 v97, v21 offset:39232                          // 000000009830: D86C9940 61000015
	ds_read_b32 v98, v21 offset:41344                          // 000000009838: D86CA180 62000015
	ds_read_b32 v99, v21 offset:41408                          // 000000009840: D86CA1C0 63000015
	ds_read_b32 v100, v21 offset:43520                         // 000000009848: D86CAA00 64000015
	ds_read_b32 v101, v21 offset:43584                         // 000000009850: D86CAA40 65000015
	ds_read_b32 v102, v21 offset:45696                         // 000000009858: D86CB280 66000015
	ds_read_b32 v103, v21 offset:45760                         // 000000009860: D86CB2C0 67000015
	ds_read_b32 v104, v21 offset:47872                         // 000000009868: D86CBB00 68000015
	ds_read_b32 v105, v21 offset:47936                         // 000000009870: D86CBB40 69000015
	ds_read_b32 v106, v21 offset:50048                         // 000000009878: D86CC380 6A000015
	ds_read_b32 v107, v21 offset:50112                         // 000000009880: D86CC3C0 6B000015
	s_waitcnt lgkmcnt(0)                                       // 000000009888: BF8CC07F
	s_mov_b32 s36, -1                                          // 00000000988C: BEA400C1
	s_mov_b32 s37, -1                                          // 000000009890: BEA500C1
	v_mov_b32_e32 v7, 0                                        // 000000009894: 7E0E0280
	s_or_b32 s9, s9, 0x40000                                   // 000000009898: 8709FF09 00040000
	s_mov_b64 exec, s[36:37]                                   // 0000000098A0: BEFE0124
	v_mov_b32_e32 v6, v43                                      // 0000000098A4: 7E0C032B
	s_mov_b64 s[60:61], 0                                      // 0000000098A8: BEBC0180
	v_readlane_b32 s82, v3, 0                                  // 0000000098AC: D2890052 00010103
	s_and_b32 s82, s82, 0xffffff                               // 0000000098B4: 8652FF52 00FFFFFF
	s_cmp_lt_u32 s82, s66                                      // 0000000098BC: BF0A4252
	s_cselect_b32 s20, s36, s60                                // 0000000098C0: 85143C24
	v_readlane_b32 s82, v3, 1                                  // 0000000098C4: D2890052 00010303
	s_and_b32 s82, s82, 0xffffff                               // 0000000098CC: 8652FF52 00FFFFFF
	s_cmp_lt_u32 s82, s66                                      // 0000000098D4: BF0A4252
	s_cselect_b32 s21, s36, s60                                // 0000000098D8: 85153C24
	s_mov_b64 exec, s[20:21]                                   // 0000000098DC: BEFE0114
	buffer_store_dword v60, v6, s[8:11], 0 offen               // 0000000098E0: E0701000 80023C06
	buffer_store_dword v62, v6, s[8:11], 0 offen offset:128    // 0000000098E8: E0701080 80023E06
	buffer_store_dword v64, v6, s[8:11], 0 offen offset:256    // 0000000098F0: E0701100 80024006
	buffer_store_dword v66, v6, s[8:11], 0 offen offset:384    // 0000000098F8: E0701180 80024206
	buffer_store_dword v68, v6, s[8:11], 0 offen offset:512    // 000000009900: E0701200 80024406
	buffer_store_dword v70, v6, s[8:11], 0 offen offset:640    // 000000009908: E0701280 80024606
	buffer_store_dword v72, v6, s[8:11], 0 offen offset:768    // 000000009910: E0701300 80024806
	buffer_store_dword v74, v6, s[8:11], 0 offen offset:896    // 000000009918: E0701380 80024A06
	s_mov_b64 exec, s[36:37]                                   // 000000009920: BEFE0124
	v_mov_b32_e32 v6, v44                                      // 000000009924: 7E0C032C
	s_mov_b64 s[60:61], 0                                      // 000000009928: BEBC0180
	v_readlane_b32 s82, v3, 2                                  // 00000000992C: D2890052 00010503
	s_and_b32 s82, s82, 0xffffff                               // 000000009934: 8652FF52 00FFFFFF
	s_cmp_lt_u32 s82, s66                                      // 00000000993C: BF0A4252
	s_cselect_b32 s20, s36, s60                                // 000000009940: 85143C24
	v_readlane_b32 s82, v3, 3                                  // 000000009944: D2890052 00010703
	s_and_b32 s82, s82, 0xffffff                               // 00000000994C: 8652FF52 00FFFFFF
	s_cmp_lt_u32 s82, s66                                      // 000000009954: BF0A4252
	s_cselect_b32 s21, s36, s60                                // 000000009958: 85153C24
	s_mov_b64 exec, s[20:21]                                   // 00000000995C: BEFE0114
	buffer_store_dword v61, v6, s[8:11], 0 offen               // 000000009960: E0701000 80023D06
	buffer_store_dword v63, v6, s[8:11], 0 offen offset:128    // 000000009968: E0701080 80023F06
	buffer_store_dword v65, v6, s[8:11], 0 offen offset:256    // 000000009970: E0701100 80024106
	buffer_store_dword v67, v6, s[8:11], 0 offen offset:384    // 000000009978: E0701180 80024306
	buffer_store_dword v69, v6, s[8:11], 0 offen offset:512    // 000000009980: E0701200 80024506
	buffer_store_dword v71, v6, s[8:11], 0 offen offset:640    // 000000009988: E0701280 80024706
	buffer_store_dword v73, v6, s[8:11], 0 offen offset:768    // 000000009990: E0701300 80024906
	buffer_store_dword v75, v6, s[8:11], 0 offen offset:896    // 000000009998: E0701380 80024B06
	s_mov_b64 exec, s[36:37]                                   // 0000000099A0: BEFE0124
	v_mov_b32_e32 v6, v45                                      // 0000000099A4: 7E0C032D
	s_mov_b64 s[60:61], 0                                      // 0000000099A8: BEBC0180
	v_readlane_b32 s82, v3, 4                                  // 0000000099AC: D2890052 00010903
	s_and_b32 s82, s82, 0xffffff                               // 0000000099B4: 8652FF52 00FFFFFF
	s_cmp_lt_u32 s82, s66                                      // 0000000099BC: BF0A4252
	s_cselect_b32 s20, s36, s60                                // 0000000099C0: 85143C24
	v_readlane_b32 s82, v3, 5                                  // 0000000099C4: D2890052 00010B03
	s_and_b32 s82, s82, 0xffffff                               // 0000000099CC: 8652FF52 00FFFFFF
	s_cmp_lt_u32 s82, s66                                      // 0000000099D4: BF0A4252
	s_cselect_b32 s21, s36, s60                                // 0000000099D8: 85153C24
	s_mov_b64 exec, s[20:21]                                   // 0000000099DC: BEFE0114
	buffer_store_dword v76, v6, s[8:11], 0 offen               // 0000000099E0: E0701000 80024C06
	buffer_store_dword v78, v6, s[8:11], 0 offen offset:128    // 0000000099E8: E0701080 80024E06
	buffer_store_dword v80, v6, s[8:11], 0 offen offset:256    // 0000000099F0: E0701100 80025006
	buffer_store_dword v82, v6, s[8:11], 0 offen offset:384    // 0000000099F8: E0701180 80025206
	buffer_store_dword v84, v6, s[8:11], 0 offen offset:512    // 000000009A00: E0701200 80025406
	buffer_store_dword v86, v6, s[8:11], 0 offen offset:640    // 000000009A08: E0701280 80025606
	buffer_store_dword v88, v6, s[8:11], 0 offen offset:768    // 000000009A10: E0701300 80025806
	buffer_store_dword v90, v6, s[8:11], 0 offen offset:896    // 000000009A18: E0701380 80025A06
	s_mov_b64 exec, s[36:37]                                   // 000000009A20: BEFE0124
	v_mov_b32_e32 v6, v46                                      // 000000009A24: 7E0C032E
	s_mov_b64 s[60:61], 0                                      // 000000009A28: BEBC0180
	v_readlane_b32 s82, v3, 6                                  // 000000009A2C: D2890052 00010D03
	s_and_b32 s82, s82, 0xffffff                               // 000000009A34: 8652FF52 00FFFFFF
	s_cmp_lt_u32 s82, s66                                      // 000000009A3C: BF0A4252
	s_cselect_b32 s20, s36, s60                                // 000000009A40: 85143C24
	v_readlane_b32 s82, v3, 7                                  // 000000009A44: D2890052 00010F03
	s_and_b32 s82, s82, 0xffffff                               // 000000009A4C: 8652FF52 00FFFFFF
	s_cmp_lt_u32 s82, s66                                      // 000000009A54: BF0A4252
	s_cselect_b32 s21, s36, s60                                // 000000009A58: 85153C24
	s_mov_b64 exec, s[20:21]                                   // 000000009A5C: BEFE0114
	buffer_store_dword v77, v6, s[8:11], 0 offen               // 000000009A60: E0701000 80024D06
	buffer_store_dword v79, v6, s[8:11], 0 offen offset:128    // 000000009A68: E0701080 80024F06
	buffer_store_dword v81, v6, s[8:11], 0 offen offset:256    // 000000009A70: E0701100 80025106
	buffer_store_dword v83, v6, s[8:11], 0 offen offset:384    // 000000009A78: E0701180 80025306
	buffer_store_dword v85, v6, s[8:11], 0 offen offset:512    // 000000009A80: E0701200 80025506
	buffer_store_dword v87, v6, s[8:11], 0 offen offset:640    // 000000009A88: E0701280 80025706
	buffer_store_dword v89, v6, s[8:11], 0 offen offset:768    // 000000009A90: E0701300 80025906
	buffer_store_dword v91, v6, s[8:11], 0 offen offset:896    // 000000009A98: E0701380 80025B06
	s_mov_b64 exec, s[36:37]                                   // 000000009AA0: BEFE0124
	v_mov_b32_e32 v6, v47                                      // 000000009AA4: 7E0C032F
	s_mov_b64 s[60:61], 0                                      // 000000009AA8: BEBC0180
	v_readlane_b32 s82, v3, 8                                  // 000000009AAC: D2890052 00011103
	s_and_b32 s82, s82, 0xffffff                               // 000000009AB4: 8652FF52 00FFFFFF
	s_cmp_lt_u32 s82, s66                                      // 000000009ABC: BF0A4252
	s_cselect_b32 s20, s36, s60                                // 000000009AC0: 85143C24
	v_readlane_b32 s82, v3, 9                                  // 000000009AC4: D2890052 00011303
	s_and_b32 s82, s82, 0xffffff                               // 000000009ACC: 8652FF52 00FFFFFF
	s_cmp_lt_u32 s82, s66                                      // 000000009AD4: BF0A4252
	s_cselect_b32 s21, s36, s60                                // 000000009AD8: 85153C24
	s_mov_b64 exec, s[20:21]                                   // 000000009ADC: BEFE0114
	buffer_store_dword v92, v6, s[8:11], 0 offen               // 000000009AE0: E0701000 80025C06
	buffer_store_dword v94, v6, s[8:11], 0 offen offset:128    // 000000009AE8: E0701080 80025E06
	buffer_store_dword v96, v6, s[8:11], 0 offen offset:256    // 000000009AF0: E0701100 80026006
	buffer_store_dword v98, v6, s[8:11], 0 offen offset:384    // 000000009AF8: E0701180 80026206
	buffer_store_dword v100, v6, s[8:11], 0 offen offset:512   // 000000009B00: E0701200 80026406
	buffer_store_dword v102, v6, s[8:11], 0 offen offset:640   // 000000009B08: E0701280 80026606
	buffer_store_dword v104, v6, s[8:11], 0 offen offset:768   // 000000009B10: E0701300 80026806
	buffer_store_dword v106, v6, s[8:11], 0 offen offset:896   // 000000009B18: E0701380 80026A06
	s_mov_b64 exec, s[36:37]                                   // 000000009B20: BEFE0124
	v_mov_b32_e32 v6, v48                                      // 000000009B24: 7E0C0330
	s_mov_b64 s[60:61], 0                                      // 000000009B28: BEBC0180
	v_readlane_b32 s82, v3, 10                                 // 000000009B2C: D2890052 00011503
	s_and_b32 s82, s82, 0xffffff                               // 000000009B34: 8652FF52 00FFFFFF
	s_cmp_lt_u32 s82, s66                                      // 000000009B3C: BF0A4252
	s_cselect_b32 s20, s36, s60                                // 000000009B40: 85143C24
	v_readlane_b32 s82, v3, 11                                 // 000000009B44: D2890052 00011703
	s_and_b32 s82, s82, 0xffffff                               // 000000009B4C: 8652FF52 00FFFFFF
	s_cmp_lt_u32 s82, s66                                      // 000000009B54: BF0A4252
	s_cselect_b32 s21, s36, s60                                // 000000009B58: 85153C24
	s_mov_b64 exec, s[20:21]                                   // 000000009B5C: BEFE0114
	buffer_store_dword v93, v6, s[8:11], 0 offen               // 000000009B60: E0701000 80025D06
	buffer_store_dword v95, v6, s[8:11], 0 offen offset:128    // 000000009B68: E0701080 80025F06
	buffer_store_dword v97, v6, s[8:11], 0 offen offset:256    // 000000009B70: E0701100 80026106
	buffer_store_dword v99, v6, s[8:11], 0 offen offset:384    // 000000009B78: E0701180 80026306
	buffer_store_dword v101, v6, s[8:11], 0 offen offset:512   // 000000009B80: E0701200 80026506
	buffer_store_dword v103, v6, s[8:11], 0 offen offset:640   // 000000009B88: E0701280 80026706
	buffer_store_dword v105, v6, s[8:11], 0 offen offset:768   // 000000009B90: E0701300 80026906
	buffer_store_dword v107, v6, s[8:11], 0 offen offset:896   // 000000009B98: E0701380 80026B06
	s_mov_b64 exec, s[36:37]                                   // 000000009BA0: BEFE0124
	s_branch label_41C9                                        // 000000009BA4: BF82255C

0000000000009ba8 <label_1C6A>:
	ds_write_b64 v20, v[60:61]                                 // 000000009BA8: D89A0000 00003C14
	ds_write_b64 v20, v[64:65] offset:17408                    // 000000009BB0: D89A4400 00004014
	ds_write_b64 v20, v[68:69] offset:34816                    // 000000009BB8: D89A8800 00004414
	ds_write_b64 v20, v[72:73] offset:2176                     // 000000009BC0: D89A0880 00004814
	ds_write_b64 v20, v[76:77] offset:19584                    // 000000009BC8: D89A4C80 00004C14
	ds_write_b64 v20, v[80:81] offset:36992                    // 000000009BD0: D89A9080 00005014
	ds_write_b64 v20, v[84:85] offset:4352                     // 000000009BD8: D89A1100 00005414
	ds_write_b64 v20, v[88:89] offset:21760                    // 000000009BE0: D89A5500 00005814
	ds_write_b64 v20, v[92:93] offset:39168                    // 000000009BE8: D89A9900 00005C14
	ds_write_b64 v20, v[96:97] offset:6528                     // 000000009BF0: D89A1980 00006014
	ds_write_b64 v20, v[100:101] offset:23936                  // 000000009BF8: D89A5D80 00006414
	ds_write_b64 v20, v[104:105] offset:41344                  // 000000009C00: D89AA180 00006814
	ds_write_b64 v20, v[108:109] offset:8704                   // 000000009C08: D89A2200 00006C14
	ds_write_b64 v20, v[112:113] offset:26112                  // 000000009C10: D89A6600 00007014
	ds_write_b64 v20, v[116:117] offset:43520                  // 000000009C18: D89AAA00 00007414
	ds_write_b64 v20, v[120:121] offset:10880                  // 000000009C20: D89A2A80 00007814
	ds_write_b64 v20, v[124:125] offset:28288                  // 000000009C28: D89A6E80 00007C14
	ds_write_b64 v20, v[128:129] offset:45696                  // 000000009C30: D89AB280 00008014
	ds_write_b64 v20, v[132:133] offset:13056                  // 000000009C38: D89A3300 00008414
	ds_write_b64 v20, v[136:137] offset:30464                  // 000000009C40: D89A7700 00008814
	ds_write_b64 v20, v[140:141] offset:47872                  // 000000009C48: D89ABB00 00008C14
	ds_write_b64 v20, v[144:145] offset:15232                  // 000000009C50: D89A3B80 00009014
	ds_write_b64 v20, v[148:149] offset:32640                  // 000000009C58: D89A7F80 00009414
	ds_write_b64 v20, v[152:153] offset:50048                  // 000000009C60: D89AC380 00009814
	v_lshrrev_b32_e32 v4, 5, v0                                // 000000009C68: 20080085
	v_xor_b32_e32 v5, 1, v4                                    // 000000009C6C: 2A0A0881
	s_mul_i32 s60, s65, 2                                      // 000000009C70: 923C8241
	s_cmp_eq_u32 s88, 0                                        // 000000009C74: BF068058
	s_cselect_b32 s61, 1, 4                                    // 000000009C78: 853D8481
	s_mul_i32 s60, s61, s60                                    // 000000009C7C: 923C3C3D
	v_readlane_b32 s82, v3, 0                                  // 000000009C80: D2890052 00010103
	s_lshr_b32 s61, s82, 24                                    // 000000009C88: 8F3D9852
	s_and_b32 s82, s82, 0xffffff                               // 000000009C8C: 8652FF52 00FFFFFF
	s_mul_i32 s82, s82, s71                                    // 000000009C94: 92524752
	s_mul_i32 s61, s60, s61                                    // 000000009C98: 923D3D3C
	s_add_u32 s82, s82, s61                                    // 000000009C9C: 80523D52
	v_mul_lo_u32 v6, v5, s82                                   // 000000009CA0: D2850006 0000A505
	v_readlane_b32 s82, v3, 1                                  // 000000009CA8: D2890052 00010303
	s_lshr_b32 s61, s82, 24                                    // 000000009CB0: 8F3D9852
	s_and_b32 s82, s82, 0xffffff                               // 000000009CB4: 8652FF52 00FFFFFF
	s_mul_i32 s82, s82, s71                                    // 000000009CBC: 92524752
	s_mul_i32 s61, s60, s61                                    // 000000009CC0: 923D3D3C
	s_add_u32 s82, s82, s61                                    // 000000009CC4: 80523D52
	v_mul_lo_u32 v7, v4, s82                                   // 000000009CC8: D2850007 0000A504
	v_add_u32_e32 v43, v6, v7                                  // 000000009CD0: 68560F06
	v_readlane_b32 s82, v3, 2                                  // 000000009CD4: D2890052 00010503
	s_lshr_b32 s61, s82, 24                                    // 000000009CDC: 8F3D9852
	s_and_b32 s82, s82, 0xffffff                               // 000000009CE0: 8652FF52 00FFFFFF
	s_mul_i32 s82, s82, s71                                    // 000000009CE8: 92524752
	s_mul_i32 s61, s60, s61                                    // 000000009CEC: 923D3D3C
	s_add_u32 s82, s82, s61                                    // 000000009CF0: 80523D52
	v_mul_lo_u32 v6, v5, s82                                   // 000000009CF4: D2850006 0000A505
	v_readlane_b32 s82, v3, 3                                  // 000000009CFC: D2890052 00010703
	s_lshr_b32 s61, s82, 24                                    // 000000009D04: 8F3D9852
	s_and_b32 s82, s82, 0xffffff                               // 000000009D08: 8652FF52 00FFFFFF
	s_mul_i32 s82, s82, s71                                    // 000000009D10: 92524752
	s_mul_i32 s61, s60, s61                                    // 000000009D14: 923D3D3C
	s_add_u32 s82, s82, s61                                    // 000000009D18: 80523D52
	v_mul_lo_u32 v7, v4, s82                                   // 000000009D1C: D2850007 0000A504
	v_add_u32_e32 v44, v6, v7                                  // 000000009D24: 68580F06
	v_readlane_b32 s82, v3, 4                                  // 000000009D28: D2890052 00010903
	s_lshr_b32 s61, s82, 24                                    // 000000009D30: 8F3D9852
	s_and_b32 s82, s82, 0xffffff                               // 000000009D34: 8652FF52 00FFFFFF
	s_mul_i32 s82, s82, s71                                    // 000000009D3C: 92524752
	s_mul_i32 s61, s60, s61                                    // 000000009D40: 923D3D3C
	s_add_u32 s82, s82, s61                                    // 000000009D44: 80523D52
	v_mul_lo_u32 v6, v5, s82                                   // 000000009D48: D2850006 0000A505
	v_readlane_b32 s82, v3, 5                                  // 000000009D50: D2890052 00010B03
	s_lshr_b32 s61, s82, 24                                    // 000000009D58: 8F3D9852
	s_and_b32 s82, s82, 0xffffff                               // 000000009D5C: 8652FF52 00FFFFFF
	s_mul_i32 s82, s82, s71                                    // 000000009D64: 92524752
	s_mul_i32 s61, s60, s61                                    // 000000009D68: 923D3D3C
	s_add_u32 s82, s82, s61                                    // 000000009D6C: 80523D52
	v_mul_lo_u32 v7, v4, s82                                   // 000000009D70: D2850007 0000A504
	v_add_u32_e32 v45, v6, v7                                  // 000000009D78: 685A0F06
	v_readlane_b32 s82, v3, 6                                  // 000000009D7C: D2890052 00010D03
	s_lshr_b32 s61, s82, 24                                    // 000000009D84: 8F3D9852
	s_and_b32 s82, s82, 0xffffff                               // 000000009D88: 8652FF52 00FFFFFF
	s_mul_i32 s82, s82, s71                                    // 000000009D90: 92524752
	s_mul_i32 s61, s60, s61                                    // 000000009D94: 923D3D3C
	s_add_u32 s82, s82, s61                                    // 000000009D98: 80523D52
	v_mul_lo_u32 v6, v5, s82                                   // 000000009D9C: D2850006 0000A505
	v_readlane_b32 s82, v3, 7                                  // 000000009DA4: D2890052 00010F03
	s_lshr_b32 s61, s82, 24                                    // 000000009DAC: 8F3D9852
	s_and_b32 s82, s82, 0xffffff                               // 000000009DB0: 8652FF52 00FFFFFF
	s_mul_i32 s82, s82, s71                                    // 000000009DB8: 92524752
	s_mul_i32 s61, s60, s61                                    // 000000009DBC: 923D3D3C
	s_add_u32 s82, s82, s61                                    // 000000009DC0: 80523D52
	v_mul_lo_u32 v7, v4, s82                                   // 000000009DC4: D2850007 0000A504
	v_add_u32_e32 v46, v6, v7                                  // 000000009DCC: 685C0F06
	v_readlane_b32 s82, v3, 8                                  // 000000009DD0: D2890052 00011103
	s_lshr_b32 s61, s82, 24                                    // 000000009DD8: 8F3D9852
	s_and_b32 s82, s82, 0xffffff                               // 000000009DDC: 8652FF52 00FFFFFF
	s_mul_i32 s82, s82, s71                                    // 000000009DE4: 92524752
	s_mul_i32 s61, s60, s61                                    // 000000009DE8: 923D3D3C
	s_add_u32 s82, s82, s61                                    // 000000009DEC: 80523D52
	v_mul_lo_u32 v6, v5, s82                                   // 000000009DF0: D2850006 0000A505
	v_readlane_b32 s82, v3, 9                                  // 000000009DF8: D2890052 00011303
	s_lshr_b32 s61, s82, 24                                    // 000000009E00: 8F3D9852
	s_and_b32 s82, s82, 0xffffff                               // 000000009E04: 8652FF52 00FFFFFF
	s_mul_i32 s82, s82, s71                                    // 000000009E0C: 92524752
	s_mul_i32 s61, s60, s61                                    // 000000009E10: 923D3D3C
	s_add_u32 s82, s82, s61                                    // 000000009E14: 80523D52
	v_mul_lo_u32 v7, v4, s82                                   // 000000009E18: D2850007 0000A504
	v_add_u32_e32 v47, v6, v7                                  // 000000009E20: 685E0F06
	v_readlane_b32 s82, v3, 10                                 // 000000009E24: D2890052 00011503
	s_lshr_b32 s61, s82, 24                                    // 000000009E2C: 8F3D9852
	s_and_b32 s82, s82, 0xffffff                               // 000000009E30: 8652FF52 00FFFFFF
	s_mul_i32 s82, s82, s71                                    // 000000009E38: 92524752
	s_mul_i32 s61, s60, s61                                    // 000000009E3C: 923D3D3C
	s_add_u32 s82, s82, s61                                    // 000000009E40: 80523D52
	v_mul_lo_u32 v6, v5, s82                                   // 000000009E44: D2850006 0000A505
	v_readlane_b32 s82, v3, 11                                 // 000000009E4C: D2890052 00011703
	s_lshr_b32 s61, s82, 24                                    // 000000009E54: 8F3D9852
	s_and_b32 s82, s82, 0xffffff                               // 000000009E58: 8652FF52 00FFFFFF
	s_mul_i32 s82, s82, s71                                    // 000000009E60: 92524752
	s_mul_i32 s61, s60, s61                                    // 000000009E64: 923D3D3C
	s_add_u32 s82, s82, s61                                    // 000000009E68: 80523D52
	v_mul_lo_u32 v7, v4, s82                                   // 000000009E6C: D2850007 0000A504
	v_add_u32_e32 v48, v6, v7                                  // 000000009E74: 68600F06
	v_and_b32_e32 v4, 31, v0                                   // 000000009E78: 2608009F
	v_lshrrev_b32_e32 v4, 1, v4                                // 000000009E7C: 20080881
	s_cmp_eq_u32 s88, 0                                        // 000000009E80: BF068058
	s_cselect_b32 s61, 2, 4                                    // 000000009E84: 853D8482
	v_mul_lo_u32 v4, v4, s61                                   // 000000009E88: D2850004 00007B04
	v_and_b32_e64 v5, v0, 1                                    // 000000009E90: D1130005 00010300
	v_add_u32_e32 v4, v4, v5                                   // 000000009E98: 68080B04
	v_lshlrev_b32_e32 v4, 2, v4                                // 000000009E9C: 24080882
	v_add_u32_e32 v43, v43, v4                                 // 000000009EA0: 6856092B
	v_add_u32_e32 v44, v44, v4                                 // 000000009EA4: 6858092C
	v_add_u32_e32 v45, v45, v4                                 // 000000009EA8: 685A092D
	v_add_u32_e32 v46, v46, v4                                 // 000000009EAC: 685C092E
	v_add_u32_e32 v47, v47, v4                                 // 000000009EB0: 685E092F
	v_add_u32_e32 v48, v48, v4                                 // 000000009EB4: 68600930
	s_waitcnt lgkmcnt(0)                                       // 000000009EB8: BF8CC07F
	s_barrier                                                  // 000000009EBC: BF8A0000
	ds_read_b32 v60, v21                                       // 000000009EC0: D86C0000 3C000015
	ds_read_b32 v61, v21 offset:64                             // 000000009EC8: D86C0040 3D000015
	ds_read_b32 v64, v21 offset:2176                           // 000000009ED0: D86C0880 40000015
	ds_read_b32 v65, v21 offset:2240                           // 000000009ED8: D86C08C0 41000015
	ds_read_b32 v68, v21 offset:4352                           // 000000009EE0: D86C1100 44000015
	ds_read_b32 v69, v21 offset:4416                           // 000000009EE8: D86C1140 45000015
	ds_read_b32 v72, v21 offset:6528                           // 000000009EF0: D86C1980 48000015
	ds_read_b32 v73, v21 offset:6592                           // 000000009EF8: D86C19C0 49000015
	ds_read_b32 v76, v21 offset:8704                           // 000000009F00: D86C2200 4C000015
	ds_read_b32 v77, v21 offset:8768                           // 000000009F08: D86C2240 4D000015
	ds_read_b32 v80, v21 offset:10880                          // 000000009F10: D86C2A80 50000015
	ds_read_b32 v81, v21 offset:10944                          // 000000009F18: D86C2AC0 51000015
	ds_read_b32 v84, v21 offset:13056                          // 000000009F20: D86C3300 54000015
	ds_read_b32 v85, v21 offset:13120                          // 000000009F28: D86C3340 55000015
	ds_read_b32 v88, v21 offset:15232                          // 000000009F30: D86C3B80 58000015
	ds_read_b32 v89, v21 offset:15296                          // 000000009F38: D86C3BC0 59000015
	ds_read_b32 v92, v21 offset:17408                          // 000000009F40: D86C4400 5C000015
	ds_read_b32 v93, v21 offset:17472                          // 000000009F48: D86C4440 5D000015
	ds_read_b32 v96, v21 offset:19584                          // 000000009F50: D86C4C80 60000015
	ds_read_b32 v97, v21 offset:19648                          // 000000009F58: D86C4CC0 61000015
	ds_read_b32 v100, v21 offset:21760                         // 000000009F60: D86C5500 64000015
	ds_read_b32 v101, v21 offset:21824                         // 000000009F68: D86C5540 65000015
	ds_read_b32 v104, v21 offset:23936                         // 000000009F70: D86C5D80 68000015
	ds_read_b32 v105, v21 offset:24000                         // 000000009F78: D86C5DC0 69000015
	ds_read_b32 v108, v21 offset:26112                         // 000000009F80: D86C6600 6C000015
	ds_read_b32 v109, v21 offset:26176                         // 000000009F88: D86C6640 6D000015
	ds_read_b32 v112, v21 offset:28288                         // 000000009F90: D86C6E80 70000015
	ds_read_b32 v113, v21 offset:28352                         // 000000009F98: D86C6EC0 71000015
	ds_read_b32 v116, v21 offset:30464                         // 000000009FA0: D86C7700 74000015
	ds_read_b32 v117, v21 offset:30528                         // 000000009FA8: D86C7740 75000015
	ds_read_b32 v120, v21 offset:32640                         // 000000009FB0: D86C7F80 78000015
	ds_read_b32 v121, v21 offset:32704                         // 000000009FB8: D86C7FC0 79000015
	ds_read_b32 v124, v21 offset:34816                         // 000000009FC0: D86C8800 7C000015
	ds_read_b32 v125, v21 offset:34880                         // 000000009FC8: D86C8840 7D000015
	ds_read_b32 v128, v21 offset:36992                         // 000000009FD0: D86C9080 80000015
	ds_read_b32 v129, v21 offset:37056                         // 000000009FD8: D86C90C0 81000015
	ds_read_b32 v132, v21 offset:39168                         // 000000009FE0: D86C9900 84000015
	ds_read_b32 v133, v21 offset:39232                         // 000000009FE8: D86C9940 85000015
	ds_read_b32 v136, v21 offset:41344                         // 000000009FF0: D86CA180 88000015
	ds_read_b32 v137, v21 offset:41408                         // 000000009FF8: D86CA1C0 89000015
	ds_read_b32 v140, v21 offset:43520                         // 00000000A000: D86CAA00 8C000015
	ds_read_b32 v141, v21 offset:43584                         // 00000000A008: D86CAA40 8D000015
	ds_read_b32 v144, v21 offset:45696                         // 00000000A010: D86CB280 90000015
	ds_read_b32 v145, v21 offset:45760                         // 00000000A018: D86CB2C0 91000015
	ds_read_b32 v148, v21 offset:47872                         // 00000000A020: D86CBB00 94000015
	ds_read_b32 v149, v21 offset:47936                         // 00000000A028: D86CBB40 95000015
	ds_read_b32 v152, v21 offset:50048                         // 00000000A030: D86CC380 98000015
	ds_read_b32 v153, v21 offset:50112                         // 00000000A038: D86CC3C0 99000015
	s_waitcnt lgkmcnt(0)                                       // 00000000A040: BF8CC07F
	s_mov_b32 s36, -1                                          // 00000000A044: BEA400C1
	s_mov_b32 s37, -1                                          // 00000000A048: BEA500C1
	v_mov_b32_e32 v7, 0                                        // 00000000A04C: 7E0E0280
	s_mov_b64 exec, s[36:37]                                   // 00000000A050: BEFE0124
	v_mov_b32_e32 v6, v43                                      // 00000000A054: 7E0C032B
	s_mov_b64 s[60:61], 0                                      // 00000000A058: BEBC0180
	v_readlane_b32 s82, v3, 0                                  // 00000000A05C: D2890052 00010103
	s_and_b32 s82, s82, 0xffffff                               // 00000000A064: 8652FF52 00FFFFFF
	s_cmp_lt_u32 s82, s66                                      // 00000000A06C: BF0A4252
	s_cselect_b32 s20, s36, s60                                // 00000000A070: 85143C24
	v_readlane_b32 s82, v3, 1                                  // 00000000A074: D2890052 00010303
	s_and_b32 s82, s82, 0xffffff                               // 00000000A07C: 8652FF52 00FFFFFF
	s_cmp_lt_u32 s82, s66                                      // 00000000A084: BF0A4252
	s_cselect_b32 s21, s36, s60                                // 00000000A088: 85153C24
	s_mov_b64 exec, s[20:21]                                   // 00000000A08C: BEFE0114
	global_atomic_add_f32 v6, v60, s[8:9]                      // 00000000A090: DD348000 00083C06
	global_atomic_add_f32 v6, v64, s[8:9] offset:256           // 00000000A098: DD348100 00084006
	global_atomic_add_f32 v6, v68, s[8:9] offset:512           // 00000000A0A0: DD348200 00084406
	global_atomic_add_f32 v6, v72, s[8:9] offset:768           // 00000000A0A8: DD348300 00084806
	global_atomic_add_f32 v6, v76, s[8:9] offset:1024          // 00000000A0B0: DD348400 00084C06
	global_atomic_add_f32 v6, v80, s[8:9] offset:1280          // 00000000A0B8: DD348500 00085006
	global_atomic_add_f32 v6, v84, s[8:9] offset:1536          // 00000000A0C0: DD348600 00085406
	global_atomic_add_f32 v6, v88, s[8:9] offset:1792          // 00000000A0C8: DD348700 00085806
	s_mov_b64 exec, s[36:37]                                   // 00000000A0D0: BEFE0124
	v_mov_b32_e32 v6, v44                                      // 00000000A0D4: 7E0C032C
	s_mov_b64 s[60:61], 0                                      // 00000000A0D8: BEBC0180
	v_readlane_b32 s82, v3, 2                                  // 00000000A0DC: D2890052 00010503
	s_and_b32 s82, s82, 0xffffff                               // 00000000A0E4: 8652FF52 00FFFFFF
	s_cmp_lt_u32 s82, s66                                      // 00000000A0EC: BF0A4252
	s_cselect_b32 s20, s36, s60                                // 00000000A0F0: 85143C24
	v_readlane_b32 s82, v3, 3                                  // 00000000A0F4: D2890052 00010703
	s_and_b32 s82, s82, 0xffffff                               // 00000000A0FC: 8652FF52 00FFFFFF
	s_cmp_lt_u32 s82, s66                                      // 00000000A104: BF0A4252
	s_cselect_b32 s21, s36, s60                                // 00000000A108: 85153C24
	s_mov_b64 exec, s[20:21]                                   // 00000000A10C: BEFE0114
	global_atomic_add_f32 v6, v61, s[8:9]                      // 00000000A110: DD348000 00083D06
	global_atomic_add_f32 v6, v65, s[8:9] offset:256           // 00000000A118: DD348100 00084106
	global_atomic_add_f32 v6, v69, s[8:9] offset:512           // 00000000A120: DD348200 00084506
	global_atomic_add_f32 v6, v73, s[8:9] offset:768           // 00000000A128: DD348300 00084906
	global_atomic_add_f32 v6, v77, s[8:9] offset:1024          // 00000000A130: DD348400 00084D06
	global_atomic_add_f32 v6, v81, s[8:9] offset:1280          // 00000000A138: DD348500 00085106
	global_atomic_add_f32 v6, v85, s[8:9] offset:1536          // 00000000A140: DD348600 00085506
	global_atomic_add_f32 v6, v89, s[8:9] offset:1792          // 00000000A148: DD348700 00085906
	s_mov_b64 exec, s[36:37]                                   // 00000000A150: BEFE0124
	v_mov_b32_e32 v6, v45                                      // 00000000A154: 7E0C032D
	s_mov_b64 s[60:61], 0                                      // 00000000A158: BEBC0180
	v_readlane_b32 s82, v3, 4                                  // 00000000A15C: D2890052 00010903
	s_and_b32 s82, s82, 0xffffff                               // 00000000A164: 8652FF52 00FFFFFF
	s_cmp_lt_u32 s82, s66                                      // 00000000A16C: BF0A4252
	s_cselect_b32 s20, s36, s60                                // 00000000A170: 85143C24
	v_readlane_b32 s82, v3, 5                                  // 00000000A174: D2890052 00010B03
	s_and_b32 s82, s82, 0xffffff                               // 00000000A17C: 8652FF52 00FFFFFF
	s_cmp_lt_u32 s82, s66                                      // 00000000A184: BF0A4252
	s_cselect_b32 s21, s36, s60                                // 00000000A188: 85153C24
	s_mov_b64 exec, s[20:21]                                   // 00000000A18C: BEFE0114
	global_atomic_add_f32 v6, v92, s[8:9]                      // 00000000A190: DD348000 00085C06
	global_atomic_add_f32 v6, v96, s[8:9] offset:256           // 00000000A198: DD348100 00086006
	global_atomic_add_f32 v6, v100, s[8:9] offset:512          // 00000000A1A0: DD348200 00086406
	global_atomic_add_f32 v6, v104, s[8:9] offset:768          // 00000000A1A8: DD348300 00086806
	global_atomic_add_f32 v6, v108, s[8:9] offset:1024         // 00000000A1B0: DD348400 00086C06
	global_atomic_add_f32 v6, v112, s[8:9] offset:1280         // 00000000A1B8: DD348500 00087006
	global_atomic_add_f32 v6, v116, s[8:9] offset:1536         // 00000000A1C0: DD348600 00087406
	global_atomic_add_f32 v6, v120, s[8:9] offset:1792         // 00000000A1C8: DD348700 00087806
	s_mov_b64 exec, s[36:37]                                   // 00000000A1D0: BEFE0124
	v_mov_b32_e32 v6, v46                                      // 00000000A1D4: 7E0C032E
	s_mov_b64 s[60:61], 0                                      // 00000000A1D8: BEBC0180
	v_readlane_b32 s82, v3, 6                                  // 00000000A1DC: D2890052 00010D03
	s_and_b32 s82, s82, 0xffffff                               // 00000000A1E4: 8652FF52 00FFFFFF
	s_cmp_lt_u32 s82, s66                                      // 00000000A1EC: BF0A4252
	s_cselect_b32 s20, s36, s60                                // 00000000A1F0: 85143C24
	v_readlane_b32 s82, v3, 7                                  // 00000000A1F4: D2890052 00010F03
	s_and_b32 s82, s82, 0xffffff                               // 00000000A1FC: 8652FF52 00FFFFFF
	s_cmp_lt_u32 s82, s66                                      // 00000000A204: BF0A4252
	s_cselect_b32 s21, s36, s60                                // 00000000A208: 85153C24
	s_mov_b64 exec, s[20:21]                                   // 00000000A20C: BEFE0114
	global_atomic_add_f32 v6, v93, s[8:9]                      // 00000000A210: DD348000 00085D06
	global_atomic_add_f32 v6, v97, s[8:9] offset:256           // 00000000A218: DD348100 00086106
	global_atomic_add_f32 v6, v101, s[8:9] offset:512          // 00000000A220: DD348200 00086506
	global_atomic_add_f32 v6, v105, s[8:9] offset:768          // 00000000A228: DD348300 00086906
	global_atomic_add_f32 v6, v109, s[8:9] offset:1024         // 00000000A230: DD348400 00086D06
	global_atomic_add_f32 v6, v113, s[8:9] offset:1280         // 00000000A238: DD348500 00087106
	global_atomic_add_f32 v6, v117, s[8:9] offset:1536         // 00000000A240: DD348600 00087506
	global_atomic_add_f32 v6, v121, s[8:9] offset:1792         // 00000000A248: DD348700 00087906
	s_mov_b64 exec, s[36:37]                                   // 00000000A250: BEFE0124
	v_mov_b32_e32 v6, v47                                      // 00000000A254: 7E0C032F
	s_mov_b64 s[60:61], 0                                      // 00000000A258: BEBC0180
	v_readlane_b32 s82, v3, 8                                  // 00000000A25C: D2890052 00011103
	s_and_b32 s82, s82, 0xffffff                               // 00000000A264: 8652FF52 00FFFFFF
	s_cmp_lt_u32 s82, s66                                      // 00000000A26C: BF0A4252
	s_cselect_b32 s20, s36, s60                                // 00000000A270: 85143C24
	v_readlane_b32 s82, v3, 9                                  // 00000000A274: D2890052 00011303
	s_and_b32 s82, s82, 0xffffff                               // 00000000A27C: 8652FF52 00FFFFFF
	s_cmp_lt_u32 s82, s66                                      // 00000000A284: BF0A4252
	s_cselect_b32 s21, s36, s60                                // 00000000A288: 85153C24
	s_mov_b64 exec, s[20:21]                                   // 00000000A28C: BEFE0114
	global_atomic_add_f32 v6, v124, s[8:9]                     // 00000000A290: DD348000 00087C06
	global_atomic_add_f32 v6, v128, s[8:9] offset:256          // 00000000A298: DD348100 00088006
	global_atomic_add_f32 v6, v132, s[8:9] offset:512          // 00000000A2A0: DD348200 00088406
	global_atomic_add_f32 v6, v136, s[8:9] offset:768          // 00000000A2A8: DD348300 00088806
	global_atomic_add_f32 v6, v140, s[8:9] offset:1024         // 00000000A2B0: DD348400 00088C06
	global_atomic_add_f32 v6, v144, s[8:9] offset:1280         // 00000000A2B8: DD348500 00089006
	global_atomic_add_f32 v6, v148, s[8:9] offset:1536         // 00000000A2C0: DD348600 00089406
	global_atomic_add_f32 v6, v152, s[8:9] offset:1792         // 00000000A2C8: DD348700 00089806
	s_mov_b64 exec, s[36:37]                                   // 00000000A2D0: BEFE0124
	v_mov_b32_e32 v6, v48                                      // 00000000A2D4: 7E0C0330
	s_mov_b64 s[60:61], 0                                      // 00000000A2D8: BEBC0180
	v_readlane_b32 s82, v3, 10                                 // 00000000A2DC: D2890052 00011503
	s_and_b32 s82, s82, 0xffffff                               // 00000000A2E4: 8652FF52 00FFFFFF
	s_cmp_lt_u32 s82, s66                                      // 00000000A2EC: BF0A4252
	s_cselect_b32 s20, s36, s60                                // 00000000A2F0: 85143C24
	v_readlane_b32 s82, v3, 11                                 // 00000000A2F4: D2890052 00011703
	s_and_b32 s82, s82, 0xffffff                               // 00000000A2FC: 8652FF52 00FFFFFF
	s_cmp_lt_u32 s82, s66                                      // 00000000A304: BF0A4252
	s_cselect_b32 s21, s36, s60                                // 00000000A308: 85153C24
	s_mov_b64 exec, s[20:21]                                   // 00000000A30C: BEFE0114
	global_atomic_add_f32 v6, v125, s[8:9]                     // 00000000A310: DD348000 00087D06
	global_atomic_add_f32 v6, v129, s[8:9] offset:256          // 00000000A318: DD348100 00088106
	global_atomic_add_f32 v6, v133, s[8:9] offset:512          // 00000000A320: DD348200 00088506
	global_atomic_add_f32 v6, v137, s[8:9] offset:768          // 00000000A328: DD348300 00088906
	global_atomic_add_f32 v6, v141, s[8:9] offset:1024         // 00000000A330: DD348400 00088D06
	global_atomic_add_f32 v6, v145, s[8:9] offset:1280         // 00000000A338: DD348500 00089106
	global_atomic_add_f32 v6, v149, s[8:9] offset:1536         // 00000000A340: DD348600 00089506
	global_atomic_add_f32 v6, v153, s[8:9] offset:1792         // 00000000A348: DD348700 00089906
	s_mov_b64 exec, s[36:37]                                   // 00000000A350: BEFE0124
	ds_write_b64 v20, v[62:63]                                 // 00000000A354: D89A0000 00003E14
	ds_write_b64 v20, v[66:67] offset:17408                    // 00000000A35C: D89A4400 00004214
	ds_write_b64 v20, v[70:71] offset:34816                    // 00000000A364: D89A8800 00004614
	ds_write_b64 v20, v[74:75] offset:2176                     // 00000000A36C: D89A0880 00004A14
	ds_write_b64 v20, v[78:79] offset:19584                    // 00000000A374: D89A4C80 00004E14
	ds_write_b64 v20, v[82:83] offset:36992                    // 00000000A37C: D89A9080 00005214
	ds_write_b64 v20, v[86:87] offset:4352                     // 00000000A384: D89A1100 00005614
	ds_write_b64 v20, v[90:91] offset:21760                    // 00000000A38C: D89A5500 00005A14
	ds_write_b64 v20, v[94:95] offset:39168                    // 00000000A394: D89A9900 00005E14
	ds_write_b64 v20, v[98:99] offset:6528                     // 00000000A39C: D89A1980 00006214
	ds_write_b64 v20, v[102:103] offset:23936                  // 00000000A3A4: D89A5D80 00006614
	ds_write_b64 v20, v[106:107] offset:41344                  // 00000000A3AC: D89AA180 00006A14
	ds_write_b64 v20, v[110:111] offset:8704                   // 00000000A3B4: D89A2200 00006E14
	ds_write_b64 v20, v[114:115] offset:26112                  // 00000000A3BC: D89A6600 00007214
	ds_write_b64 v20, v[118:119] offset:43520                  // 00000000A3C4: D89AAA00 00007614
	ds_write_b64 v20, v[122:123] offset:10880                  // 00000000A3CC: D89A2A80 00007A14
	ds_write_b64 v20, v[126:127] offset:28288                  // 00000000A3D4: D89A6E80 00007E14
	ds_write_b64 v20, v[130:131] offset:45696                  // 00000000A3DC: D89AB280 00008214
	ds_write_b64 v20, v[134:135] offset:13056                  // 00000000A3E4: D89A3300 00008614
	ds_write_b64 v20, v[138:139] offset:30464                  // 00000000A3EC: D89A7700 00008A14
	ds_write_b64 v20, v[142:143] offset:47872                  // 00000000A3F4: D89ABB00 00008E14
	ds_write_b64 v20, v[146:147] offset:15232                  // 00000000A3FC: D89A3B80 00009214
	ds_write_b64 v20, v[150:151] offset:32640                  // 00000000A404: D89A7F80 00009614
	ds_write_b64 v20, v[154:155] offset:50048                  // 00000000A40C: D89AC380 00009A14
	s_waitcnt lgkmcnt(0)                                       // 00000000A414: BF8CC07F
	s_barrier                                                  // 00000000A418: BF8A0000
	ds_read_b32 v62, v21                                       // 00000000A41C: D86C0000 3E000015
	ds_read_b32 v63, v21 offset:64                             // 00000000A424: D86C0040 3F000015
	ds_read_b32 v66, v21 offset:2176                           // 00000000A42C: D86C0880 42000015
	ds_read_b32 v67, v21 offset:2240                           // 00000000A434: D86C08C0 43000015
	ds_read_b32 v70, v21 offset:4352                           // 00000000A43C: D86C1100 46000015
	ds_read_b32 v71, v21 offset:4416                           // 00000000A444: D86C1140 47000015
	ds_read_b32 v74, v21 offset:6528                           // 00000000A44C: D86C1980 4A000015
	ds_read_b32 v75, v21 offset:6592                           // 00000000A454: D86C19C0 4B000015
	ds_read_b32 v78, v21 offset:8704                           // 00000000A45C: D86C2200 4E000015
	ds_read_b32 v79, v21 offset:8768                           // 00000000A464: D86C2240 4F000015
	ds_read_b32 v82, v21 offset:10880                          // 00000000A46C: D86C2A80 52000015
	ds_read_b32 v83, v21 offset:10944                          // 00000000A474: D86C2AC0 53000015
	ds_read_b32 v86, v21 offset:13056                          // 00000000A47C: D86C3300 56000015
	ds_read_b32 v87, v21 offset:13120                          // 00000000A484: D86C3340 57000015
	ds_read_b32 v90, v21 offset:15232                          // 00000000A48C: D86C3B80 5A000015
	ds_read_b32 v91, v21 offset:15296                          // 00000000A494: D86C3BC0 5B000015
	ds_read_b32 v94, v21 offset:17408                          // 00000000A49C: D86C4400 5E000015
	ds_read_b32 v95, v21 offset:17472                          // 00000000A4A4: D86C4440 5F000015
	ds_read_b32 v98, v21 offset:19584                          // 00000000A4AC: D86C4C80 62000015
	ds_read_b32 v99, v21 offset:19648                          // 00000000A4B4: D86C4CC0 63000015
	ds_read_b32 v102, v21 offset:21760                         // 00000000A4BC: D86C5500 66000015
	ds_read_b32 v103, v21 offset:21824                         // 00000000A4C4: D86C5540 67000015
	ds_read_b32 v106, v21 offset:23936                         // 00000000A4CC: D86C5D80 6A000015
	ds_read_b32 v107, v21 offset:24000                         // 00000000A4D4: D86C5DC0 6B000015
	ds_read_b32 v110, v21 offset:26112                         // 00000000A4DC: D86C6600 6E000015
	ds_read_b32 v111, v21 offset:26176                         // 00000000A4E4: D86C6640 6F000015
	ds_read_b32 v114, v21 offset:28288                         // 00000000A4EC: D86C6E80 72000015
	ds_read_b32 v115, v21 offset:28352                         // 00000000A4F4: D86C6EC0 73000015
	ds_read_b32 v118, v21 offset:30464                         // 00000000A4FC: D86C7700 76000015
	ds_read_b32 v119, v21 offset:30528                         // 00000000A504: D86C7740 77000015
	ds_read_b32 v122, v21 offset:32640                         // 00000000A50C: D86C7F80 7A000015
	ds_read_b32 v123, v21 offset:32704                         // 00000000A514: D86C7FC0 7B000015
	ds_read_b32 v126, v21 offset:34816                         // 00000000A51C: D86C8800 7E000015
	ds_read_b32 v127, v21 offset:34880                         // 00000000A524: D86C8840 7F000015
	ds_read_b32 v130, v21 offset:36992                         // 00000000A52C: D86C9080 82000015
	ds_read_b32 v131, v21 offset:37056                         // 00000000A534: D86C90C0 83000015
	ds_read_b32 v134, v21 offset:39168                         // 00000000A53C: D86C9900 86000015
	ds_read_b32 v135, v21 offset:39232                         // 00000000A544: D86C9940 87000015
	ds_read_b32 v138, v21 offset:41344                         // 00000000A54C: D86CA180 8A000015
	ds_read_b32 v139, v21 offset:41408                         // 00000000A554: D86CA1C0 8B000015
	ds_read_b32 v142, v21 offset:43520                         // 00000000A55C: D86CAA00 8E000015
	ds_read_b32 v143, v21 offset:43584                         // 00000000A564: D86CAA40 8F000015
	ds_read_b32 v146, v21 offset:45696                         // 00000000A56C: D86CB280 92000015
	ds_read_b32 v147, v21 offset:45760                         // 00000000A574: D86CB2C0 93000015
	ds_read_b32 v150, v21 offset:47872                         // 00000000A57C: D86CBB00 96000015
	ds_read_b32 v151, v21 offset:47936                         // 00000000A584: D86CBB40 97000015
	ds_read_b32 v154, v21 offset:50048                         // 00000000A58C: D86CC380 9A000015
	ds_read_b32 v155, v21 offset:50112                         // 00000000A594: D86CC3C0 9B000015
	s_waitcnt lgkmcnt(0)                                       // 00000000A59C: BF8CC07F
	v_mov_b32_e32 v7, 0                                        // 00000000A5A0: 7E0E0280
	s_mov_b64 exec, s[36:37]                                   // 00000000A5A4: BEFE0124
	v_mov_b32_e32 v6, v43                                      // 00000000A5A8: 7E0C032B
	s_mov_b64 s[60:61], 0                                      // 00000000A5AC: BEBC0180
	v_readlane_b32 s82, v3, 0                                  // 00000000A5B0: D2890052 00010103
	s_and_b32 s82, s82, 0xffffff                               // 00000000A5B8: 8652FF52 00FFFFFF
	s_cmp_lt_u32 s82, s66                                      // 00000000A5C0: BF0A4252
	s_cselect_b32 s20, s36, s60                                // 00000000A5C4: 85143C24
	v_readlane_b32 s82, v3, 1                                  // 00000000A5C8: D2890052 00010303
	s_and_b32 s82, s82, 0xffffff                               // 00000000A5D0: 8652FF52 00FFFFFF
	s_cmp_lt_u32 s82, s66                                      // 00000000A5D8: BF0A4252
	s_cselect_b32 s21, s36, s60                                // 00000000A5DC: 85153C24
	s_mov_b64 exec, s[20:21]                                   // 00000000A5E0: BEFE0114
	global_atomic_add_f32 v6, v62, s[8:9] offset:8             // 00000000A5E4: DD348008 00083E06
	global_atomic_add_f32 v6, v66, s[8:9] offset:264           // 00000000A5EC: DD348108 00084206
	global_atomic_add_f32 v6, v70, s[8:9] offset:520           // 00000000A5F4: DD348208 00084606
	global_atomic_add_f32 v6, v74, s[8:9] offset:776           // 00000000A5FC: DD348308 00084A06
	global_atomic_add_f32 v6, v78, s[8:9] offset:1032          // 00000000A604: DD348408 00084E06
	global_atomic_add_f32 v6, v82, s[8:9] offset:1288          // 00000000A60C: DD348508 00085206
	global_atomic_add_f32 v6, v86, s[8:9] offset:1544          // 00000000A614: DD348608 00085606
	global_atomic_add_f32 v6, v90, s[8:9] offset:1800          // 00000000A61C: DD348708 00085A06
	s_mov_b64 exec, s[36:37]                                   // 00000000A624: BEFE0124
	v_mov_b32_e32 v6, v44                                      // 00000000A628: 7E0C032C
	s_mov_b64 s[60:61], 0                                      // 00000000A62C: BEBC0180
	v_readlane_b32 s82, v3, 2                                  // 00000000A630: D2890052 00010503
	s_and_b32 s82, s82, 0xffffff                               // 00000000A638: 8652FF52 00FFFFFF
	s_cmp_lt_u32 s82, s66                                      // 00000000A640: BF0A4252
	s_cselect_b32 s20, s36, s60                                // 00000000A644: 85143C24
	v_readlane_b32 s82, v3, 3                                  // 00000000A648: D2890052 00010703
	s_and_b32 s82, s82, 0xffffff                               // 00000000A650: 8652FF52 00FFFFFF
	s_cmp_lt_u32 s82, s66                                      // 00000000A658: BF0A4252
	s_cselect_b32 s21, s36, s60                                // 00000000A65C: 85153C24
	s_mov_b64 exec, s[20:21]                                   // 00000000A660: BEFE0114
	global_atomic_add_f32 v6, v63, s[8:9] offset:8             // 00000000A664: DD348008 00083F06
	global_atomic_add_f32 v6, v67, s[8:9] offset:264           // 00000000A66C: DD348108 00084306
	global_atomic_add_f32 v6, v71, s[8:9] offset:520           // 00000000A674: DD348208 00084706
	global_atomic_add_f32 v6, v75, s[8:9] offset:776           // 00000000A67C: DD348308 00084B06
	global_atomic_add_f32 v6, v79, s[8:9] offset:1032          // 00000000A684: DD348408 00084F06
	global_atomic_add_f32 v6, v83, s[8:9] offset:1288          // 00000000A68C: DD348508 00085306
	global_atomic_add_f32 v6, v87, s[8:9] offset:1544          // 00000000A694: DD348608 00085706
	global_atomic_add_f32 v6, v91, s[8:9] offset:1800          // 00000000A69C: DD348708 00085B06
	s_mov_b64 exec, s[36:37]                                   // 00000000A6A4: BEFE0124
	v_mov_b32_e32 v6, v45                                      // 00000000A6A8: 7E0C032D
	s_mov_b64 s[60:61], 0                                      // 00000000A6AC: BEBC0180
	v_readlane_b32 s82, v3, 4                                  // 00000000A6B0: D2890052 00010903
	s_and_b32 s82, s82, 0xffffff                               // 00000000A6B8: 8652FF52 00FFFFFF
	s_cmp_lt_u32 s82, s66                                      // 00000000A6C0: BF0A4252
	s_cselect_b32 s20, s36, s60                                // 00000000A6C4: 85143C24
	v_readlane_b32 s82, v3, 5                                  // 00000000A6C8: D2890052 00010B03
	s_and_b32 s82, s82, 0xffffff                               // 00000000A6D0: 8652FF52 00FFFFFF
	s_cmp_lt_u32 s82, s66                                      // 00000000A6D8: BF0A4252
	s_cselect_b32 s21, s36, s60                                // 00000000A6DC: 85153C24
	s_mov_b64 exec, s[20:21]                                   // 00000000A6E0: BEFE0114
	global_atomic_add_f32 v6, v94, s[8:9] offset:8             // 00000000A6E4: DD348008 00085E06
	global_atomic_add_f32 v6, v98, s[8:9] offset:264           // 00000000A6EC: DD348108 00086206
	global_atomic_add_f32 v6, v102, s[8:9] offset:520          // 00000000A6F4: DD348208 00086606
	global_atomic_add_f32 v6, v106, s[8:9] offset:776          // 00000000A6FC: DD348308 00086A06
	global_atomic_add_f32 v6, v110, s[8:9] offset:1032         // 00000000A704: DD348408 00086E06
	global_atomic_add_f32 v6, v114, s[8:9] offset:1288         // 00000000A70C: DD348508 00087206
	global_atomic_add_f32 v6, v118, s[8:9] offset:1544         // 00000000A714: DD348608 00087606
	global_atomic_add_f32 v6, v122, s[8:9] offset:1800         // 00000000A71C: DD348708 00087A06
	s_mov_b64 exec, s[36:37]                                   // 00000000A724: BEFE0124
	v_mov_b32_e32 v6, v46                                      // 00000000A728: 7E0C032E
	s_mov_b64 s[60:61], 0                                      // 00000000A72C: BEBC0180
	v_readlane_b32 s82, v3, 6                                  // 00000000A730: D2890052 00010D03
	s_and_b32 s82, s82, 0xffffff                               // 00000000A738: 8652FF52 00FFFFFF
	s_cmp_lt_u32 s82, s66                                      // 00000000A740: BF0A4252
	s_cselect_b32 s20, s36, s60                                // 00000000A744: 85143C24
	v_readlane_b32 s82, v3, 7                                  // 00000000A748: D2890052 00010F03
	s_and_b32 s82, s82, 0xffffff                               // 00000000A750: 8652FF52 00FFFFFF
	s_cmp_lt_u32 s82, s66                                      // 00000000A758: BF0A4252
	s_cselect_b32 s21, s36, s60                                // 00000000A75C: 85153C24
	s_mov_b64 exec, s[20:21]                                   // 00000000A760: BEFE0114
	global_atomic_add_f32 v6, v95, s[8:9] offset:8             // 00000000A764: DD348008 00085F06
	global_atomic_add_f32 v6, v99, s[8:9] offset:264           // 00000000A76C: DD348108 00086306
	global_atomic_add_f32 v6, v103, s[8:9] offset:520          // 00000000A774: DD348208 00086706
	global_atomic_add_f32 v6, v107, s[8:9] offset:776          // 00000000A77C: DD348308 00086B06
	global_atomic_add_f32 v6, v111, s[8:9] offset:1032         // 00000000A784: DD348408 00086F06
	global_atomic_add_f32 v6, v115, s[8:9] offset:1288         // 00000000A78C: DD348508 00087306
	global_atomic_add_f32 v6, v119, s[8:9] offset:1544         // 00000000A794: DD348608 00087706
	global_atomic_add_f32 v6, v123, s[8:9] offset:1800         // 00000000A79C: DD348708 00087B06
	s_mov_b64 exec, s[36:37]                                   // 00000000A7A4: BEFE0124
	v_mov_b32_e32 v6, v47                                      // 00000000A7A8: 7E0C032F
	s_mov_b64 s[60:61], 0                                      // 00000000A7AC: BEBC0180
	v_readlane_b32 s82, v3, 8                                  // 00000000A7B0: D2890052 00011103
	s_and_b32 s82, s82, 0xffffff                               // 00000000A7B8: 8652FF52 00FFFFFF
	s_cmp_lt_u32 s82, s66                                      // 00000000A7C0: BF0A4252
	s_cselect_b32 s20, s36, s60                                // 00000000A7C4: 85143C24
	v_readlane_b32 s82, v3, 9                                  // 00000000A7C8: D2890052 00011303
	s_and_b32 s82, s82, 0xffffff                               // 00000000A7D0: 8652FF52 00FFFFFF
	s_cmp_lt_u32 s82, s66                                      // 00000000A7D8: BF0A4252
	s_cselect_b32 s21, s36, s60                                // 00000000A7DC: 85153C24
	s_mov_b64 exec, s[20:21]                                   // 00000000A7E0: BEFE0114
	global_atomic_add_f32 v6, v126, s[8:9] offset:8            // 00000000A7E4: DD348008 00087E06
	global_atomic_add_f32 v6, v130, s[8:9] offset:264          // 00000000A7EC: DD348108 00088206
	global_atomic_add_f32 v6, v134, s[8:9] offset:520          // 00000000A7F4: DD348208 00088606
	global_atomic_add_f32 v6, v138, s[8:9] offset:776          // 00000000A7FC: DD348308 00088A06
	global_atomic_add_f32 v6, v142, s[8:9] offset:1032         // 00000000A804: DD348408 00088E06
	global_atomic_add_f32 v6, v146, s[8:9] offset:1288         // 00000000A80C: DD348508 00089206
	global_atomic_add_f32 v6, v150, s[8:9] offset:1544         // 00000000A814: DD348608 00089606
	global_atomic_add_f32 v6, v154, s[8:9] offset:1800         // 00000000A81C: DD348708 00089A06
	s_mov_b64 exec, s[36:37]                                   // 00000000A824: BEFE0124
	v_mov_b32_e32 v6, v48                                      // 00000000A828: 7E0C0330
	s_mov_b64 s[60:61], 0                                      // 00000000A82C: BEBC0180
	v_readlane_b32 s82, v3, 10                                 // 00000000A830: D2890052 00011503
	s_and_b32 s82, s82, 0xffffff                               // 00000000A838: 8652FF52 00FFFFFF
	s_cmp_lt_u32 s82, s66                                      // 00000000A840: BF0A4252
	s_cselect_b32 s20, s36, s60                                // 00000000A844: 85143C24
	v_readlane_b32 s82, v3, 11                                 // 00000000A848: D2890052 00011703
	s_and_b32 s82, s82, 0xffffff                               // 00000000A850: 8652FF52 00FFFFFF
	s_cmp_lt_u32 s82, s66                                      // 00000000A858: BF0A4252
	s_cselect_b32 s21, s36, s60                                // 00000000A85C: 85153C24
	s_mov_b64 exec, s[20:21]                                   // 00000000A860: BEFE0114
	global_atomic_add_f32 v6, v127, s[8:9] offset:8            // 00000000A864: DD348008 00087F06
	global_atomic_add_f32 v6, v131, s[8:9] offset:264          // 00000000A86C: DD348108 00088306
	global_atomic_add_f32 v6, v135, s[8:9] offset:520          // 00000000A874: DD348208 00088706
	global_atomic_add_f32 v6, v139, s[8:9] offset:776          // 00000000A87C: DD348308 00088B06
	global_atomic_add_f32 v6, v143, s[8:9] offset:1032         // 00000000A884: DD348408 00088F06
	global_atomic_add_f32 v6, v147, s[8:9] offset:1288         // 00000000A88C: DD348508 00089306
	global_atomic_add_f32 v6, v151, s[8:9] offset:1544         // 00000000A894: DD348608 00089706
	global_atomic_add_f32 v6, v155, s[8:9] offset:1800         // 00000000A89C: DD348708 00089B06
	s_mov_b64 exec, s[36:37]                                   // 00000000A8A4: BEFE0124
	ds_write_b64 v20, v[156:157]                               // 00000000A8A8: D89A0000 00009C14
	ds_write_b64 v20, v[160:161] offset:17408                  // 00000000A8B0: D89A4400 0000A014
	ds_write_b64 v20, v[164:165] offset:34816                  // 00000000A8B8: D89A8800 0000A414
	ds_write_b64 v20, v[168:169] offset:2176                   // 00000000A8C0: D89A0880 0000A814
	ds_write_b64 v20, v[172:173] offset:19584                  // 00000000A8C8: D89A4C80 0000AC14
	ds_write_b64 v20, v[176:177] offset:36992                  // 00000000A8D0: D89A9080 0000B014
	ds_write_b64 v20, v[180:181] offset:4352                   // 00000000A8D8: D89A1100 0000B414
	ds_write_b64 v20, v[184:185] offset:21760                  // 00000000A8E0: D89A5500 0000B814
	ds_write_b64 v20, v[188:189] offset:39168                  // 00000000A8E8: D89A9900 0000BC14
	ds_write_b64 v20, v[192:193] offset:6528                   // 00000000A8F0: D89A1980 0000C014
	ds_write_b64 v20, v[196:197] offset:23936                  // 00000000A8F8: D89A5D80 0000C414
	ds_write_b64 v20, v[200:201] offset:41344                  // 00000000A900: D89AA180 0000C814
	ds_write_b64 v20, v[204:205] offset:8704                   // 00000000A908: D89A2200 0000CC14
	ds_write_b64 v20, v[208:209] offset:26112                  // 00000000A910: D89A6600 0000D014
	ds_write_b64 v20, v[212:213] offset:43520                  // 00000000A918: D89AAA00 0000D414
	ds_write_b64 v20, v[216:217] offset:10880                  // 00000000A920: D89A2A80 0000D814
	ds_write_b64 v20, v[220:221] offset:28288                  // 00000000A928: D89A6E80 0000DC14
	ds_write_b64 v20, v[224:225] offset:45696                  // 00000000A930: D89AB280 0000E014
	ds_write_b64 v20, v[228:229] offset:13056                  // 00000000A938: D89A3300 0000E414
	ds_write_b64 v20, v[232:233] offset:30464                  // 00000000A940: D89A7700 0000E814
	ds_write_b64 v20, v[236:237] offset:47872                  // 00000000A948: D89ABB00 0000EC14
	ds_write_b64 v20, v[240:241] offset:15232                  // 00000000A950: D89A3B80 0000F014
	ds_write_b64 v20, v[244:245] offset:32640                  // 00000000A958: D89A7F80 0000F414
	ds_write_b64 v20, v[248:249] offset:50048                  // 00000000A960: D89AC380 0000F814
	s_waitcnt lgkmcnt(0)                                       // 00000000A968: BF8CC07F
	s_barrier                                                  // 00000000A96C: BF8A0000
	ds_read_b32 v156, v21                                      // 00000000A970: D86C0000 9C000015
	ds_read_b32 v157, v21 offset:64                            // 00000000A978: D86C0040 9D000015
	ds_read_b32 v160, v21 offset:2176                          // 00000000A980: D86C0880 A0000015
	ds_read_b32 v161, v21 offset:2240                          // 00000000A988: D86C08C0 A1000015
	ds_read_b32 v164, v21 offset:4352                          // 00000000A990: D86C1100 A4000015
	ds_read_b32 v165, v21 offset:4416                          // 00000000A998: D86C1140 A5000015
	ds_read_b32 v168, v21 offset:6528                          // 00000000A9A0: D86C1980 A8000015
	ds_read_b32 v169, v21 offset:6592                          // 00000000A9A8: D86C19C0 A9000015
	ds_read_b32 v172, v21 offset:8704                          // 00000000A9B0: D86C2200 AC000015
	ds_read_b32 v173, v21 offset:8768                          // 00000000A9B8: D86C2240 AD000015
	ds_read_b32 v176, v21 offset:10880                         // 00000000A9C0: D86C2A80 B0000015
	ds_read_b32 v177, v21 offset:10944                         // 00000000A9C8: D86C2AC0 B1000015
	ds_read_b32 v180, v21 offset:13056                         // 00000000A9D0: D86C3300 B4000015
	ds_read_b32 v181, v21 offset:13120                         // 00000000A9D8: D86C3340 B5000015
	ds_read_b32 v184, v21 offset:15232                         // 00000000A9E0: D86C3B80 B8000015
	ds_read_b32 v185, v21 offset:15296                         // 00000000A9E8: D86C3BC0 B9000015
	ds_read_b32 v188, v21 offset:17408                         // 00000000A9F0: D86C4400 BC000015
	ds_read_b32 v189, v21 offset:17472                         // 00000000A9F8: D86C4440 BD000015
	ds_read_b32 v192, v21 offset:19584                         // 00000000AA00: D86C4C80 C0000015
	ds_read_b32 v193, v21 offset:19648                         // 00000000AA08: D86C4CC0 C1000015
	ds_read_b32 v196, v21 offset:21760                         // 00000000AA10: D86C5500 C4000015
	ds_read_b32 v197, v21 offset:21824                         // 00000000AA18: D86C5540 C5000015
	ds_read_b32 v200, v21 offset:23936                         // 00000000AA20: D86C5D80 C8000015
	ds_read_b32 v201, v21 offset:24000                         // 00000000AA28: D86C5DC0 C9000015
	ds_read_b32 v204, v21 offset:26112                         // 00000000AA30: D86C6600 CC000015
	ds_read_b32 v205, v21 offset:26176                         // 00000000AA38: D86C6640 CD000015
	ds_read_b32 v208, v21 offset:28288                         // 00000000AA40: D86C6E80 D0000015
	ds_read_b32 v209, v21 offset:28352                         // 00000000AA48: D86C6EC0 D1000015
	ds_read_b32 v212, v21 offset:30464                         // 00000000AA50: D86C7700 D4000015
	ds_read_b32 v213, v21 offset:30528                         // 00000000AA58: D86C7740 D5000015
	ds_read_b32 v216, v21 offset:32640                         // 00000000AA60: D86C7F80 D8000015
	ds_read_b32 v217, v21 offset:32704                         // 00000000AA68: D86C7FC0 D9000015
	ds_read_b32 v220, v21 offset:34816                         // 00000000AA70: D86C8800 DC000015
	ds_read_b32 v221, v21 offset:34880                         // 00000000AA78: D86C8840 DD000015
	ds_read_b32 v224, v21 offset:36992                         // 00000000AA80: D86C9080 E0000015
	ds_read_b32 v225, v21 offset:37056                         // 00000000AA88: D86C90C0 E1000015
	ds_read_b32 v228, v21 offset:39168                         // 00000000AA90: D86C9900 E4000015
	ds_read_b32 v229, v21 offset:39232                         // 00000000AA98: D86C9940 E5000015
	ds_read_b32 v232, v21 offset:41344                         // 00000000AAA0: D86CA180 E8000015
	ds_read_b32 v233, v21 offset:41408                         // 00000000AAA8: D86CA1C0 E9000015
	ds_read_b32 v236, v21 offset:43520                         // 00000000AAB0: D86CAA00 EC000015
	ds_read_b32 v237, v21 offset:43584                         // 00000000AAB8: D86CAA40 ED000015
	ds_read_b32 v240, v21 offset:45696                         // 00000000AAC0: D86CB280 F0000015
	ds_read_b32 v241, v21 offset:45760                         // 00000000AAC8: D86CB2C0 F1000015
	ds_read_b32 v244, v21 offset:47872                         // 00000000AAD0: D86CBB00 F4000015
	ds_read_b32 v245, v21 offset:47936                         // 00000000AAD8: D86CBB40 F5000015
	ds_read_b32 v248, v21 offset:50048                         // 00000000AAE0: D86CC380 F8000015
	ds_read_b32 v249, v21 offset:50112                         // 00000000AAE8: D86CC3C0 F9000015
	s_mul_i32 s60, s65, 4                                      // 00000000AAF0: 923C8441
	s_add_u32 s8, s60, s8                                      // 00000000AAF4: 8008083C
	s_addc_u32 s9, 0, s9                                       // 00000000AAF8: 82090980
	s_waitcnt lgkmcnt(0)                                       // 00000000AAFC: BF8CC07F
	v_mov_b32_e32 v7, 0                                        // 00000000AB00: 7E0E0280
	s_mov_b64 exec, s[36:37]                                   // 00000000AB04: BEFE0124
	v_mov_b32_e32 v6, v43                                      // 00000000AB08: 7E0C032B
	s_mov_b64 s[60:61], 0                                      // 00000000AB0C: BEBC0180
	v_readlane_b32 s82, v3, 0                                  // 00000000AB10: D2890052 00010103
	s_and_b32 s82, s82, 0xffffff                               // 00000000AB18: 8652FF52 00FFFFFF
	s_cmp_lt_u32 s82, s66                                      // 00000000AB20: BF0A4252
	s_cselect_b32 s20, s36, s60                                // 00000000AB24: 85143C24
	v_readlane_b32 s82, v3, 1                                  // 00000000AB28: D2890052 00010303
	s_and_b32 s82, s82, 0xffffff                               // 00000000AB30: 8652FF52 00FFFFFF
	s_cmp_lt_u32 s82, s66                                      // 00000000AB38: BF0A4252
	s_cselect_b32 s21, s36, s60                                // 00000000AB3C: 85153C24
	s_mov_b64 exec, s[20:21]                                   // 00000000AB40: BEFE0114
	global_atomic_add_f32 v6, v156, s[8:9]                     // 00000000AB44: DD348000 00089C06
	global_atomic_add_f32 v6, v160, s[8:9] offset:256          // 00000000AB4C: DD348100 0008A006
	global_atomic_add_f32 v6, v164, s[8:9] offset:512          // 00000000AB54: DD348200 0008A406
	global_atomic_add_f32 v6, v168, s[8:9] offset:768          // 00000000AB5C: DD348300 0008A806
	global_atomic_add_f32 v6, v172, s[8:9] offset:1024         // 00000000AB64: DD348400 0008AC06
	global_atomic_add_f32 v6, v176, s[8:9] offset:1280         // 00000000AB6C: DD348500 0008B006
	global_atomic_add_f32 v6, v180, s[8:9] offset:1536         // 00000000AB74: DD348600 0008B406
	global_atomic_add_f32 v6, v184, s[8:9] offset:1792         // 00000000AB7C: DD348700 0008B806
	s_mov_b64 exec, s[36:37]                                   // 00000000AB84: BEFE0124
	v_mov_b32_e32 v6, v44                                      // 00000000AB88: 7E0C032C
	s_mov_b64 s[60:61], 0                                      // 00000000AB8C: BEBC0180
	v_readlane_b32 s82, v3, 2                                  // 00000000AB90: D2890052 00010503
	s_and_b32 s82, s82, 0xffffff                               // 00000000AB98: 8652FF52 00FFFFFF
	s_cmp_lt_u32 s82, s66                                      // 00000000ABA0: BF0A4252
	s_cselect_b32 s20, s36, s60                                // 00000000ABA4: 85143C24
	v_readlane_b32 s82, v3, 3                                  // 00000000ABA8: D2890052 00010703
	s_and_b32 s82, s82, 0xffffff                               // 00000000ABB0: 8652FF52 00FFFFFF
	s_cmp_lt_u32 s82, s66                                      // 00000000ABB8: BF0A4252
	s_cselect_b32 s21, s36, s60                                // 00000000ABBC: 85153C24
	s_mov_b64 exec, s[20:21]                                   // 00000000ABC0: BEFE0114
	global_atomic_add_f32 v6, v157, s[8:9]                     // 00000000ABC4: DD348000 00089D06
	global_atomic_add_f32 v6, v161, s[8:9] offset:256          // 00000000ABCC: DD348100 0008A106
	global_atomic_add_f32 v6, v165, s[8:9] offset:512          // 00000000ABD4: DD348200 0008A506
	global_atomic_add_f32 v6, v169, s[8:9] offset:768          // 00000000ABDC: DD348300 0008A906
	global_atomic_add_f32 v6, v173, s[8:9] offset:1024         // 00000000ABE4: DD348400 0008AD06
	global_atomic_add_f32 v6, v177, s[8:9] offset:1280         // 00000000ABEC: DD348500 0008B106
	global_atomic_add_f32 v6, v181, s[8:9] offset:1536         // 00000000ABF4: DD348600 0008B506
	global_atomic_add_f32 v6, v185, s[8:9] offset:1792         // 00000000ABFC: DD348700 0008B906
	s_mov_b64 exec, s[36:37]                                   // 00000000AC04: BEFE0124
	v_mov_b32_e32 v6, v45                                      // 00000000AC08: 7E0C032D
	s_mov_b64 s[60:61], 0                                      // 00000000AC0C: BEBC0180
	v_readlane_b32 s82, v3, 4                                  // 00000000AC10: D2890052 00010903
	s_and_b32 s82, s82, 0xffffff                               // 00000000AC18: 8652FF52 00FFFFFF
	s_cmp_lt_u32 s82, s66                                      // 00000000AC20: BF0A4252
	s_cselect_b32 s20, s36, s60                                // 00000000AC24: 85143C24
	v_readlane_b32 s82, v3, 5                                  // 00000000AC28: D2890052 00010B03
	s_and_b32 s82, s82, 0xffffff                               // 00000000AC30: 8652FF52 00FFFFFF
	s_cmp_lt_u32 s82, s66                                      // 00000000AC38: BF0A4252
	s_cselect_b32 s21, s36, s60                                // 00000000AC3C: 85153C24
	s_mov_b64 exec, s[20:21]                                   // 00000000AC40: BEFE0114
	global_atomic_add_f32 v6, v188, s[8:9]                     // 00000000AC44: DD348000 0008BC06
	global_atomic_add_f32 v6, v192, s[8:9] offset:256          // 00000000AC4C: DD348100 0008C006
	global_atomic_add_f32 v6, v196, s[8:9] offset:512          // 00000000AC54: DD348200 0008C406
	global_atomic_add_f32 v6, v200, s[8:9] offset:768          // 00000000AC5C: DD348300 0008C806
	global_atomic_add_f32 v6, v204, s[8:9] offset:1024         // 00000000AC64: DD348400 0008CC06
	global_atomic_add_f32 v6, v208, s[8:9] offset:1280         // 00000000AC6C: DD348500 0008D006
	global_atomic_add_f32 v6, v212, s[8:9] offset:1536         // 00000000AC74: DD348600 0008D406
	global_atomic_add_f32 v6, v216, s[8:9] offset:1792         // 00000000AC7C: DD348700 0008D806
	s_mov_b64 exec, s[36:37]                                   // 00000000AC84: BEFE0124
	v_mov_b32_e32 v6, v46                                      // 00000000AC88: 7E0C032E
	s_mov_b64 s[60:61], 0                                      // 00000000AC8C: BEBC0180
	v_readlane_b32 s82, v3, 6                                  // 00000000AC90: D2890052 00010D03
	s_and_b32 s82, s82, 0xffffff                               // 00000000AC98: 8652FF52 00FFFFFF
	s_cmp_lt_u32 s82, s66                                      // 00000000ACA0: BF0A4252
	s_cselect_b32 s20, s36, s60                                // 00000000ACA4: 85143C24
	v_readlane_b32 s82, v3, 7                                  // 00000000ACA8: D2890052 00010F03
	s_and_b32 s82, s82, 0xffffff                               // 00000000ACB0: 8652FF52 00FFFFFF
	s_cmp_lt_u32 s82, s66                                      // 00000000ACB8: BF0A4252
	s_cselect_b32 s21, s36, s60                                // 00000000ACBC: 85153C24
	s_mov_b64 exec, s[20:21]                                   // 00000000ACC0: BEFE0114
	global_atomic_add_f32 v6, v189, s[8:9]                     // 00000000ACC4: DD348000 0008BD06
	global_atomic_add_f32 v6, v193, s[8:9] offset:256          // 00000000ACCC: DD348100 0008C106
	global_atomic_add_f32 v6, v197, s[8:9] offset:512          // 00000000ACD4: DD348200 0008C506
	global_atomic_add_f32 v6, v201, s[8:9] offset:768          // 00000000ACDC: DD348300 0008C906
	global_atomic_add_f32 v6, v205, s[8:9] offset:1024         // 00000000ACE4: DD348400 0008CD06
	global_atomic_add_f32 v6, v209, s[8:9] offset:1280         // 00000000ACEC: DD348500 0008D106
	global_atomic_add_f32 v6, v213, s[8:9] offset:1536         // 00000000ACF4: DD348600 0008D506
	global_atomic_add_f32 v6, v217, s[8:9] offset:1792         // 00000000ACFC: DD348700 0008D906
	s_mov_b64 exec, s[36:37]                                   // 00000000AD04: BEFE0124
	v_mov_b32_e32 v6, v47                                      // 00000000AD08: 7E0C032F
	s_mov_b64 s[60:61], 0                                      // 00000000AD0C: BEBC0180
	v_readlane_b32 s82, v3, 8                                  // 00000000AD10: D2890052 00011103
	s_and_b32 s82, s82, 0xffffff                               // 00000000AD18: 8652FF52 00FFFFFF
	s_cmp_lt_u32 s82, s66                                      // 00000000AD20: BF0A4252
	s_cselect_b32 s20, s36, s60                                // 00000000AD24: 85143C24
	v_readlane_b32 s82, v3, 9                                  // 00000000AD28: D2890052 00011303
	s_and_b32 s82, s82, 0xffffff                               // 00000000AD30: 8652FF52 00FFFFFF
	s_cmp_lt_u32 s82, s66                                      // 00000000AD38: BF0A4252
	s_cselect_b32 s21, s36, s60                                // 00000000AD3C: 85153C24
	s_mov_b64 exec, s[20:21]                                   // 00000000AD40: BEFE0114
	global_atomic_add_f32 v6, v220, s[8:9]                     // 00000000AD44: DD348000 0008DC06
	global_atomic_add_f32 v6, v224, s[8:9] offset:256          // 00000000AD4C: DD348100 0008E006
	global_atomic_add_f32 v6, v228, s[8:9] offset:512          // 00000000AD54: DD348200 0008E406
	global_atomic_add_f32 v6, v232, s[8:9] offset:768          // 00000000AD5C: DD348300 0008E806
	global_atomic_add_f32 v6, v236, s[8:9] offset:1024         // 00000000AD64: DD348400 0008EC06
	global_atomic_add_f32 v6, v240, s[8:9] offset:1280         // 00000000AD6C: DD348500 0008F006
	global_atomic_add_f32 v6, v244, s[8:9] offset:1536         // 00000000AD74: DD348600 0008F406
	global_atomic_add_f32 v6, v248, s[8:9] offset:1792         // 00000000AD7C: DD348700 0008F806
	s_mov_b64 exec, s[36:37]                                   // 00000000AD84: BEFE0124
	v_mov_b32_e32 v6, v48                                      // 00000000AD88: 7E0C0330
	s_mov_b64 s[60:61], 0                                      // 00000000AD8C: BEBC0180
	v_readlane_b32 s82, v3, 10                                 // 00000000AD90: D2890052 00011503
	s_and_b32 s82, s82, 0xffffff                               // 00000000AD98: 8652FF52 00FFFFFF
	s_cmp_lt_u32 s82, s66                                      // 00000000ADA0: BF0A4252
	s_cselect_b32 s20, s36, s60                                // 00000000ADA4: 85143C24
	v_readlane_b32 s82, v3, 11                                 // 00000000ADA8: D2890052 00011703
	s_and_b32 s82, s82, 0xffffff                               // 00000000ADB0: 8652FF52 00FFFFFF
	s_cmp_lt_u32 s82, s66                                      // 00000000ADB8: BF0A4252
	s_cselect_b32 s21, s36, s60                                // 00000000ADBC: 85153C24
	s_mov_b64 exec, s[20:21]                                   // 00000000ADC0: BEFE0114
	global_atomic_add_f32 v6, v221, s[8:9]                     // 00000000ADC4: DD348000 0008DD06
	global_atomic_add_f32 v6, v225, s[8:9] offset:256          // 00000000ADCC: DD348100 0008E106
	global_atomic_add_f32 v6, v229, s[8:9] offset:512          // 00000000ADD4: DD348200 0008E506
	global_atomic_add_f32 v6, v233, s[8:9] offset:768          // 00000000ADDC: DD348300 0008E906
	global_atomic_add_f32 v6, v237, s[8:9] offset:1024         // 00000000ADE4: DD348400 0008ED06
	global_atomic_add_f32 v6, v241, s[8:9] offset:1280         // 00000000ADEC: DD348500 0008F106
	global_atomic_add_f32 v6, v245, s[8:9] offset:1536         // 00000000ADF4: DD348600 0008F506
	global_atomic_add_f32 v6, v249, s[8:9] offset:1792         // 00000000ADFC: DD348700 0008F906
	s_mov_b64 exec, s[36:37]                                   // 00000000AE04: BEFE0124
	ds_write_b64 v20, v[158:159]                               // 00000000AE08: D89A0000 00009E14
	ds_write_b64 v20, v[162:163] offset:17408                  // 00000000AE10: D89A4400 0000A214
	ds_write_b64 v20, v[166:167] offset:34816                  // 00000000AE18: D89A8800 0000A614
	ds_write_b64 v20, v[170:171] offset:2176                   // 00000000AE20: D89A0880 0000AA14
	ds_write_b64 v20, v[174:175] offset:19584                  // 00000000AE28: D89A4C80 0000AE14
	ds_write_b64 v20, v[178:179] offset:36992                  // 00000000AE30: D89A9080 0000B214
	ds_write_b64 v20, v[182:183] offset:4352                   // 00000000AE38: D89A1100 0000B614
	ds_write_b64 v20, v[186:187] offset:21760                  // 00000000AE40: D89A5500 0000BA14
	ds_write_b64 v20, v[190:191] offset:39168                  // 00000000AE48: D89A9900 0000BE14
	ds_write_b64 v20, v[194:195] offset:6528                   // 00000000AE50: D89A1980 0000C214
	ds_write_b64 v20, v[198:199] offset:23936                  // 00000000AE58: D89A5D80 0000C614
	ds_write_b64 v20, v[202:203] offset:41344                  // 00000000AE60: D89AA180 0000CA14
	ds_write_b64 v20, v[206:207] offset:8704                   // 00000000AE68: D89A2200 0000CE14
	ds_write_b64 v20, v[210:211] offset:26112                  // 00000000AE70: D89A6600 0000D214
	ds_write_b64 v20, v[214:215] offset:43520                  // 00000000AE78: D89AAA00 0000D614
	ds_write_b64 v20, v[218:219] offset:10880                  // 00000000AE80: D89A2A80 0000DA14
	ds_write_b64 v20, v[222:223] offset:28288                  // 00000000AE88: D89A6E80 0000DE14
	ds_write_b64 v20, v[226:227] offset:45696                  // 00000000AE90: D89AB280 0000E214
	ds_write_b64 v20, v[230:231] offset:13056                  // 00000000AE98: D89A3300 0000E614
	ds_write_b64 v20, v[234:235] offset:30464                  // 00000000AEA0: D89A7700 0000EA14
	ds_write_b64 v20, v[238:239] offset:47872                  // 00000000AEA8: D89ABB00 0000EE14
	ds_write_b64 v20, v[242:243] offset:15232                  // 00000000AEB0: D89A3B80 0000F214
	ds_write_b64 v20, v[246:247] offset:32640                  // 00000000AEB8: D89A7F80 0000F614
	ds_write_b64 v20, v[250:251] offset:50048                  // 00000000AEC0: D89AC380 0000FA14
	s_waitcnt lgkmcnt(0)                                       // 00000000AEC8: BF8CC07F
	s_barrier                                                  // 00000000AECC: BF8A0000
	ds_read_b32 v158, v21                                      // 00000000AED0: D86C0000 9E000015
	ds_read_b32 v159, v21 offset:64                            // 00000000AED8: D86C0040 9F000015
	ds_read_b32 v162, v21 offset:2176                          // 00000000AEE0: D86C0880 A2000015
	ds_read_b32 v163, v21 offset:2240                          // 00000000AEE8: D86C08C0 A3000015
	ds_read_b32 v166, v21 offset:4352                          // 00000000AEF0: D86C1100 A6000015
	ds_read_b32 v167, v21 offset:4416                          // 00000000AEF8: D86C1140 A7000015
	ds_read_b32 v170, v21 offset:6528                          // 00000000AF00: D86C1980 AA000015
	ds_read_b32 v171, v21 offset:6592                          // 00000000AF08: D86C19C0 AB000015
	ds_read_b32 v174, v21 offset:8704                          // 00000000AF10: D86C2200 AE000015
	ds_read_b32 v175, v21 offset:8768                          // 00000000AF18: D86C2240 AF000015
	ds_read_b32 v178, v21 offset:10880                         // 00000000AF20: D86C2A80 B2000015
	ds_read_b32 v179, v21 offset:10944                         // 00000000AF28: D86C2AC0 B3000015
	ds_read_b32 v182, v21 offset:13056                         // 00000000AF30: D86C3300 B6000015
	ds_read_b32 v183, v21 offset:13120                         // 00000000AF38: D86C3340 B7000015
	ds_read_b32 v186, v21 offset:15232                         // 00000000AF40: D86C3B80 BA000015
	ds_read_b32 v187, v21 offset:15296                         // 00000000AF48: D86C3BC0 BB000015
	ds_read_b32 v190, v21 offset:17408                         // 00000000AF50: D86C4400 BE000015
	ds_read_b32 v191, v21 offset:17472                         // 00000000AF58: D86C4440 BF000015
	ds_read_b32 v194, v21 offset:19584                         // 00000000AF60: D86C4C80 C2000015
	ds_read_b32 v195, v21 offset:19648                         // 00000000AF68: D86C4CC0 C3000015
	ds_read_b32 v198, v21 offset:21760                         // 00000000AF70: D86C5500 C6000015
	ds_read_b32 v199, v21 offset:21824                         // 00000000AF78: D86C5540 C7000015
	ds_read_b32 v202, v21 offset:23936                         // 00000000AF80: D86C5D80 CA000015
	ds_read_b32 v203, v21 offset:24000                         // 00000000AF88: D86C5DC0 CB000015
	ds_read_b32 v206, v21 offset:26112                         // 00000000AF90: D86C6600 CE000015
	ds_read_b32 v207, v21 offset:26176                         // 00000000AF98: D86C6640 CF000015
	ds_read_b32 v210, v21 offset:28288                         // 00000000AFA0: D86C6E80 D2000015
	ds_read_b32 v211, v21 offset:28352                         // 00000000AFA8: D86C6EC0 D3000015
	ds_read_b32 v214, v21 offset:30464                         // 00000000AFB0: D86C7700 D6000015
	ds_read_b32 v215, v21 offset:30528                         // 00000000AFB8: D86C7740 D7000015
	ds_read_b32 v218, v21 offset:32640                         // 00000000AFC0: D86C7F80 DA000015
	ds_read_b32 v219, v21 offset:32704                         // 00000000AFC8: D86C7FC0 DB000015
	ds_read_b32 v222, v21 offset:34816                         // 00000000AFD0: D86C8800 DE000015
	ds_read_b32 v223, v21 offset:34880                         // 00000000AFD8: D86C8840 DF000015
	ds_read_b32 v226, v21 offset:36992                         // 00000000AFE0: D86C9080 E2000015
	ds_read_b32 v227, v21 offset:37056                         // 00000000AFE8: D86C90C0 E3000015
	ds_read_b32 v230, v21 offset:39168                         // 00000000AFF0: D86C9900 E6000015
	ds_read_b32 v231, v21 offset:39232                         // 00000000AFF8: D86C9940 E7000015
	ds_read_b32 v234, v21 offset:41344                         // 00000000B000: D86CA180 EA000015
	ds_read_b32 v235, v21 offset:41408                         // 00000000B008: D86CA1C0 EB000015
	ds_read_b32 v238, v21 offset:43520                         // 00000000B010: D86CAA00 EE000015
	ds_read_b32 v239, v21 offset:43584                         // 00000000B018: D86CAA40 EF000015
	ds_read_b32 v242, v21 offset:45696                         // 00000000B020: D86CB280 F2000015
	ds_read_b32 v243, v21 offset:45760                         // 00000000B028: D86CB2C0 F3000015
	ds_read_b32 v246, v21 offset:47872                         // 00000000B030: D86CBB00 F6000015
	ds_read_b32 v247, v21 offset:47936                         // 00000000B038: D86CBB40 F7000015
	ds_read_b32 v250, v21 offset:50048                         // 00000000B040: D86CC380 FA000015
	ds_read_b32 v251, v21 offset:50112                         // 00000000B048: D86CC3C0 FB000015
	s_waitcnt lgkmcnt(0)                                       // 00000000B050: BF8CC07F
	v_mov_b32_e32 v7, 0                                        // 00000000B054: 7E0E0280
	s_mov_b64 exec, s[36:37]                                   // 00000000B058: BEFE0124
	v_mov_b32_e32 v6, v43                                      // 00000000B05C: 7E0C032B
	s_mov_b64 s[60:61], 0                                      // 00000000B060: BEBC0180
	v_readlane_b32 s82, v3, 0                                  // 00000000B064: D2890052 00010103
	s_and_b32 s82, s82, 0xffffff                               // 00000000B06C: 8652FF52 00FFFFFF
	s_cmp_lt_u32 s82, s66                                      // 00000000B074: BF0A4252
	s_cselect_b32 s20, s36, s60                                // 00000000B078: 85143C24
	v_readlane_b32 s82, v3, 1                                  // 00000000B07C: D2890052 00010303
	s_and_b32 s82, s82, 0xffffff                               // 00000000B084: 8652FF52 00FFFFFF
	s_cmp_lt_u32 s82, s66                                      // 00000000B08C: BF0A4252
	s_cselect_b32 s21, s36, s60                                // 00000000B090: 85153C24
	s_mov_b64 exec, s[20:21]                                   // 00000000B094: BEFE0114
	global_atomic_add_f32 v6, v158, s[8:9] offset:8            // 00000000B098: DD348008 00089E06
	global_atomic_add_f32 v6, v162, s[8:9] offset:264          // 00000000B0A0: DD348108 0008A206
	global_atomic_add_f32 v6, v166, s[8:9] offset:520          // 00000000B0A8: DD348208 0008A606
	global_atomic_add_f32 v6, v170, s[8:9] offset:776          // 00000000B0B0: DD348308 0008AA06
	global_atomic_add_f32 v6, v174, s[8:9] offset:1032         // 00000000B0B8: DD348408 0008AE06
	global_atomic_add_f32 v6, v178, s[8:9] offset:1288         // 00000000B0C0: DD348508 0008B206
	global_atomic_add_f32 v6, v182, s[8:9] offset:1544         // 00000000B0C8: DD348608 0008B606
	global_atomic_add_f32 v6, v186, s[8:9] offset:1800         // 00000000B0D0: DD348708 0008BA06
	s_mov_b64 exec, s[36:37]                                   // 00000000B0D8: BEFE0124
	v_mov_b32_e32 v6, v44                                      // 00000000B0DC: 7E0C032C
	s_mov_b64 s[60:61], 0                                      // 00000000B0E0: BEBC0180
	v_readlane_b32 s82, v3, 2                                  // 00000000B0E4: D2890052 00010503
	s_and_b32 s82, s82, 0xffffff                               // 00000000B0EC: 8652FF52 00FFFFFF
	s_cmp_lt_u32 s82, s66                                      // 00000000B0F4: BF0A4252
	s_cselect_b32 s20, s36, s60                                // 00000000B0F8: 85143C24
	v_readlane_b32 s82, v3, 3                                  // 00000000B0FC: D2890052 00010703
	s_and_b32 s82, s82, 0xffffff                               // 00000000B104: 8652FF52 00FFFFFF
	s_cmp_lt_u32 s82, s66                                      // 00000000B10C: BF0A4252
	s_cselect_b32 s21, s36, s60                                // 00000000B110: 85153C24
	s_mov_b64 exec, s[20:21]                                   // 00000000B114: BEFE0114
	global_atomic_add_f32 v6, v159, s[8:9] offset:8            // 00000000B118: DD348008 00089F06
	global_atomic_add_f32 v6, v163, s[8:9] offset:264          // 00000000B120: DD348108 0008A306
	global_atomic_add_f32 v6, v167, s[8:9] offset:520          // 00000000B128: DD348208 0008A706
	global_atomic_add_f32 v6, v171, s[8:9] offset:776          // 00000000B130: DD348308 0008AB06
	global_atomic_add_f32 v6, v175, s[8:9] offset:1032         // 00000000B138: DD348408 0008AF06
	global_atomic_add_f32 v6, v179, s[8:9] offset:1288         // 00000000B140: DD348508 0008B306
	global_atomic_add_f32 v6, v183, s[8:9] offset:1544         // 00000000B148: DD348608 0008B706
	global_atomic_add_f32 v6, v187, s[8:9] offset:1800         // 00000000B150: DD348708 0008BB06
	s_mov_b64 exec, s[36:37]                                   // 00000000B158: BEFE0124
	v_mov_b32_e32 v6, v45                                      // 00000000B15C: 7E0C032D
	s_mov_b64 s[60:61], 0                                      // 00000000B160: BEBC0180
	v_readlane_b32 s82, v3, 4                                  // 00000000B164: D2890052 00010903
	s_and_b32 s82, s82, 0xffffff                               // 00000000B16C: 8652FF52 00FFFFFF
	s_cmp_lt_u32 s82, s66                                      // 00000000B174: BF0A4252
	s_cselect_b32 s20, s36, s60                                // 00000000B178: 85143C24
	v_readlane_b32 s82, v3, 5                                  // 00000000B17C: D2890052 00010B03
	s_and_b32 s82, s82, 0xffffff                               // 00000000B184: 8652FF52 00FFFFFF
	s_cmp_lt_u32 s82, s66                                      // 00000000B18C: BF0A4252
	s_cselect_b32 s21, s36, s60                                // 00000000B190: 85153C24
	s_mov_b64 exec, s[20:21]                                   // 00000000B194: BEFE0114
	global_atomic_add_f32 v6, v190, s[8:9] offset:8            // 00000000B198: DD348008 0008BE06
	global_atomic_add_f32 v6, v194, s[8:9] offset:264          // 00000000B1A0: DD348108 0008C206
	global_atomic_add_f32 v6, v198, s[8:9] offset:520          // 00000000B1A8: DD348208 0008C606
	global_atomic_add_f32 v6, v202, s[8:9] offset:776          // 00000000B1B0: DD348308 0008CA06
	global_atomic_add_f32 v6, v206, s[8:9] offset:1032         // 00000000B1B8: DD348408 0008CE06
	global_atomic_add_f32 v6, v210, s[8:9] offset:1288         // 00000000B1C0: DD348508 0008D206
	global_atomic_add_f32 v6, v214, s[8:9] offset:1544         // 00000000B1C8: DD348608 0008D606
	global_atomic_add_f32 v6, v218, s[8:9] offset:1800         // 00000000B1D0: DD348708 0008DA06
	s_mov_b64 exec, s[36:37]                                   // 00000000B1D8: BEFE0124
	v_mov_b32_e32 v6, v46                                      // 00000000B1DC: 7E0C032E
	s_mov_b64 s[60:61], 0                                      // 00000000B1E0: BEBC0180
	v_readlane_b32 s82, v3, 6                                  // 00000000B1E4: D2890052 00010D03
	s_and_b32 s82, s82, 0xffffff                               // 00000000B1EC: 8652FF52 00FFFFFF
	s_cmp_lt_u32 s82, s66                                      // 00000000B1F4: BF0A4252
	s_cselect_b32 s20, s36, s60                                // 00000000B1F8: 85143C24
	v_readlane_b32 s82, v3, 7                                  // 00000000B1FC: D2890052 00010F03
	s_and_b32 s82, s82, 0xffffff                               // 00000000B204: 8652FF52 00FFFFFF
	s_cmp_lt_u32 s82, s66                                      // 00000000B20C: BF0A4252
	s_cselect_b32 s21, s36, s60                                // 00000000B210: 85153C24
	s_mov_b64 exec, s[20:21]                                   // 00000000B214: BEFE0114
	global_atomic_add_f32 v6, v191, s[8:9] offset:8            // 00000000B218: DD348008 0008BF06
	global_atomic_add_f32 v6, v195, s[8:9] offset:264          // 00000000B220: DD348108 0008C306
	global_atomic_add_f32 v6, v199, s[8:9] offset:520          // 00000000B228: DD348208 0008C706
	global_atomic_add_f32 v6, v203, s[8:9] offset:776          // 00000000B230: DD348308 0008CB06
	global_atomic_add_f32 v6, v207, s[8:9] offset:1032         // 00000000B238: DD348408 0008CF06
	global_atomic_add_f32 v6, v211, s[8:9] offset:1288         // 00000000B240: DD348508 0008D306
	global_atomic_add_f32 v6, v215, s[8:9] offset:1544         // 00000000B248: DD348608 0008D706
	global_atomic_add_f32 v6, v219, s[8:9] offset:1800         // 00000000B250: DD348708 0008DB06
	s_mov_b64 exec, s[36:37]                                   // 00000000B258: BEFE0124
	v_mov_b32_e32 v6, v47                                      // 00000000B25C: 7E0C032F
	s_mov_b64 s[60:61], 0                                      // 00000000B260: BEBC0180
	v_readlane_b32 s82, v3, 8                                  // 00000000B264: D2890052 00011103
	s_and_b32 s82, s82, 0xffffff                               // 00000000B26C: 8652FF52 00FFFFFF
	s_cmp_lt_u32 s82, s66                                      // 00000000B274: BF0A4252
	s_cselect_b32 s20, s36, s60                                // 00000000B278: 85143C24
	v_readlane_b32 s82, v3, 9                                  // 00000000B27C: D2890052 00011303
	s_and_b32 s82, s82, 0xffffff                               // 00000000B284: 8652FF52 00FFFFFF
	s_cmp_lt_u32 s82, s66                                      // 00000000B28C: BF0A4252
	s_cselect_b32 s21, s36, s60                                // 00000000B290: 85153C24
	s_mov_b64 exec, s[20:21]                                   // 00000000B294: BEFE0114
	global_atomic_add_f32 v6, v222, s[8:9] offset:8            // 00000000B298: DD348008 0008DE06
	global_atomic_add_f32 v6, v226, s[8:9] offset:264          // 00000000B2A0: DD348108 0008E206
	global_atomic_add_f32 v6, v230, s[8:9] offset:520          // 00000000B2A8: DD348208 0008E606
	global_atomic_add_f32 v6, v234, s[8:9] offset:776          // 00000000B2B0: DD348308 0008EA06
	global_atomic_add_f32 v6, v238, s[8:9] offset:1032         // 00000000B2B8: DD348408 0008EE06
	global_atomic_add_f32 v6, v242, s[8:9] offset:1288         // 00000000B2C0: DD348508 0008F206
	global_atomic_add_f32 v6, v246, s[8:9] offset:1544         // 00000000B2C8: DD348608 0008F606
	global_atomic_add_f32 v6, v250, s[8:9] offset:1800         // 00000000B2D0: DD348708 0008FA06
	s_mov_b64 exec, s[36:37]                                   // 00000000B2D8: BEFE0124
	v_mov_b32_e32 v6, v48                                      // 00000000B2DC: 7E0C0330
	s_mov_b64 s[60:61], 0                                      // 00000000B2E0: BEBC0180
	v_readlane_b32 s82, v3, 10                                 // 00000000B2E4: D2890052 00011503
	s_and_b32 s82, s82, 0xffffff                               // 00000000B2EC: 8652FF52 00FFFFFF
	s_cmp_lt_u32 s82, s66                                      // 00000000B2F4: BF0A4252
	s_cselect_b32 s20, s36, s60                                // 00000000B2F8: 85143C24
	v_readlane_b32 s82, v3, 11                                 // 00000000B2FC: D2890052 00011703
	s_and_b32 s82, s82, 0xffffff                               // 00000000B304: 8652FF52 00FFFFFF
	s_cmp_lt_u32 s82, s66                                      // 00000000B30C: BF0A4252
	s_cselect_b32 s21, s36, s60                                // 00000000B310: 85153C24
	s_mov_b64 exec, s[20:21]                                   // 00000000B314: BEFE0114
	global_atomic_add_f32 v6, v223, s[8:9] offset:8            // 00000000B318: DD348008 0008DF06
	global_atomic_add_f32 v6, v227, s[8:9] offset:264          // 00000000B320: DD348108 0008E306
	global_atomic_add_f32 v6, v231, s[8:9] offset:520          // 00000000B328: DD348208 0008E706
	global_atomic_add_f32 v6, v235, s[8:9] offset:776          // 00000000B330: DD348308 0008EB06
	global_atomic_add_f32 v6, v239, s[8:9] offset:1032         // 00000000B338: DD348408 0008EF06
	global_atomic_add_f32 v6, v243, s[8:9] offset:1288         // 00000000B340: DD348508 0008F306
	global_atomic_add_f32 v6, v247, s[8:9] offset:1544         // 00000000B348: DD348608 0008F706
	global_atomic_add_f32 v6, v251, s[8:9] offset:1800         // 00000000B350: DD348708 0008FB06
	s_mov_b64 exec, s[36:37]                                   // 00000000B358: BEFE0124
	s_branch label_41C9                                        // 00000000B35C: BF821F6E

000000000000b360 <label_225B>:
	s_waitcnt vmcnt(22) lgkmcnt(0)                             // 00000000B360: BF8C4076
	v_mfma_f32_16x16x32_fp8_fp8 v[60:63], a[48:49], a[0:1], v[60:63]// 00000000B364: D3F3003C 1CF20130
	buffer_load_dwordx4 a[176:179], v49, s[24:27], 0 offen     // 00000000B36C: E05C1000 8086B031
	v_mfma_f32_16x16x32_fp8_fp8 v[60:63], a[50:51], a[2:3], v[60:63]// 00000000B374: D3F3003C 1CF20532
	v_mfma_f32_16x16x32_fp8_fp8 v[60:63], a[52:53], a[4:5], v[60:63]// 00000000B37C: D3F3003C 1CF20934
	v_mfma_f32_16x16x32_fp8_fp8 v[60:63], a[54:55], a[6:7], v[60:63]// 00000000B384: D3F3003C 1CF20D36
	v_mfma_f32_16x16x32_fp8_fp8 v[72:75], a[56:57], a[0:1], v[72:75]// 00000000B38C: D3F30048 1D220138
	buffer_load_dwordx4 a[180:183], v49, s[24:27], 0 offen offset:1024// 00000000B394: E05C1400 8086B431
	v_mfma_f32_16x16x32_fp8_fp8 v[72:75], a[58:59], a[2:3], v[72:75]// 00000000B39C: D3F30048 1D22053A
	v_mfma_f32_16x16x32_fp8_fp8 v[72:75], a[60:61], a[4:5], v[72:75]// 00000000B3A4: D3F30048 1D22093C
	v_mfma_f32_16x16x32_fp8_fp8 v[72:75], a[62:63], a[6:7], v[72:75]// 00000000B3AC: D3F30048 1D220D3E
	v_mfma_f32_16x16x32_fp8_fp8 v[84:87], a[64:65], a[0:1], v[84:87]// 00000000B3B4: D3F30054 1D520140
	buffer_load_dwordx4 a[184:187], v50, s[24:27], 0 offen     // 00000000B3BC: E05C1000 8086B832
	v_mfma_f32_16x16x32_fp8_fp8 v[84:87], a[66:67], a[2:3], v[84:87]// 00000000B3C4: D3F30054 1D520542
	v_mfma_f32_16x16x32_fp8_fp8 v[84:87], a[68:69], a[4:5], v[84:87]// 00000000B3CC: D3F30054 1D520944
	v_mfma_f32_16x16x32_fp8_fp8 v[84:87], a[70:71], a[6:7], v[84:87]// 00000000B3D4: D3F30054 1D520D46
	v_mfma_f32_16x16x32_fp8_fp8 v[96:99], a[72:73], a[0:1], v[96:99]// 00000000B3DC: D3F30060 1D820148
	buffer_load_dwordx4 a[188:191], v50, s[24:27], 0 offen offset:1024// 00000000B3E4: E05C1400 8086BC32
	v_mfma_f32_16x16x32_fp8_fp8 v[96:99], a[74:75], a[2:3], v[96:99]// 00000000B3EC: D3F30060 1D82054A
	v_mfma_f32_16x16x32_fp8_fp8 v[96:99], a[76:77], a[4:5], v[96:99]// 00000000B3F4: D3F30060 1D82094C
	v_mfma_f32_16x16x32_fp8_fp8 v[96:99], a[78:79], a[6:7], v[96:99]// 00000000B3FC: D3F30060 1D820D4E
	v_mfma_f32_16x16x32_fp8_fp8 v[108:111], a[80:81], a[0:1], v[108:111]// 00000000B404: D3F3006C 1DB20150
	buffer_load_dwordx4 a[192:195], v51, s[24:27], 0 offen     // 00000000B40C: E05C1000 8086C033
	v_mfma_f32_16x16x32_fp8_fp8 v[108:111], a[82:83], a[2:3], v[108:111]// 00000000B414: D3F3006C 1DB20552
	v_mfma_f32_16x16x32_fp8_fp8 v[108:111], a[84:85], a[4:5], v[108:111]// 00000000B41C: D3F3006C 1DB20954
	v_mfma_f32_16x16x32_fp8_fp8 v[108:111], a[86:87], a[6:7], v[108:111]// 00000000B424: D3F3006C 1DB20D56
	v_mfma_f32_16x16x32_fp8_fp8 v[120:123], a[88:89], a[0:1], v[120:123]// 00000000B42C: D3F30078 1DE20158
	buffer_load_dwordx4 a[196:199], v51, s[24:27], 0 offen offset:1024// 00000000B434: E05C1400 8086C433
	v_mfma_f32_16x16x32_fp8_fp8 v[120:123], a[90:91], a[2:3], v[120:123]// 00000000B43C: D3F30078 1DE2055A
	v_mfma_f32_16x16x32_fp8_fp8 v[120:123], a[92:93], a[4:5], v[120:123]// 00000000B444: D3F30078 1DE2095C
	v_mfma_f32_16x16x32_fp8_fp8 v[120:123], a[94:95], a[6:7], v[120:123]// 00000000B44C: D3F30078 1DE20D5E
	v_mfma_f32_16x16x32_fp8_fp8 v[132:135], a[96:97], a[0:1], v[132:135]// 00000000B454: D3F30084 1E120160
	buffer_load_dwordx4 a[200:203], v52, s[24:27], 0 offen     // 00000000B45C: E05C1000 8086C834
	v_mfma_f32_16x16x32_fp8_fp8 v[132:135], a[98:99], a[2:3], v[132:135]// 00000000B464: D3F30084 1E120562
	v_mfma_f32_16x16x32_fp8_fp8 v[132:135], a[100:101], a[4:5], v[132:135]// 00000000B46C: D3F30084 1E120964
	v_mfma_f32_16x16x32_fp8_fp8 v[132:135], a[102:103], a[6:7], v[132:135]// 00000000B474: D3F30084 1E120D66
	v_mfma_f32_16x16x32_fp8_fp8 v[144:147], a[104:105], a[0:1], v[144:147]// 00000000B47C: D3F30090 1E420168
	buffer_load_dwordx4 a[204:207], v52, s[24:27], 0 offen offset:1024// 00000000B484: E05C1400 8086CC34
	v_mfma_f32_16x16x32_fp8_fp8 v[144:147], a[106:107], a[2:3], v[144:147]// 00000000B48C: D3F30090 1E42056A
	v_mfma_f32_16x16x32_fp8_fp8 v[144:147], a[108:109], a[4:5], v[144:147]// 00000000B494: D3F30090 1E42096C
	v_mfma_f32_16x16x32_fp8_fp8 v[144:147], a[110:111], a[6:7], v[144:147]// 00000000B49C: D3F30090 1E420D6E
	v_mfma_f32_16x16x32_fp8_fp8 v[64:67], a[48:49], a[8:9], v[64:67]// 00000000B4A4: D3F30040 1D021130
	buffer_load_dwordx4 a[208:211], v53, s[24:27], 0 offen     // 00000000B4AC: E05C1000 8086D035
	v_mfma_f32_16x16x32_fp8_fp8 v[64:67], a[50:51], a[10:11], v[64:67]// 00000000B4B4: D3F30040 1D021532
	v_mfma_f32_16x16x32_fp8_fp8 v[64:67], a[52:53], a[12:13], v[64:67]// 00000000B4BC: D3F30040 1D021934
	v_mfma_f32_16x16x32_fp8_fp8 v[64:67], a[54:55], a[14:15], v[64:67]// 00000000B4C4: D3F30040 1D021D36
	v_mfma_f32_16x16x32_fp8_fp8 v[76:79], a[56:57], a[8:9], v[76:79]// 00000000B4CC: D3F3004C 1D321138
	buffer_load_dwordx4 a[212:215], v53, s[24:27], 0 offen offset:1024// 00000000B4D4: E05C1400 8086D435
	v_mfma_f32_16x16x32_fp8_fp8 v[76:79], a[58:59], a[10:11], v[76:79]// 00000000B4DC: D3F3004C 1D32153A
	v_mfma_f32_16x16x32_fp8_fp8 v[76:79], a[60:61], a[12:13], v[76:79]// 00000000B4E4: D3F3004C 1D32193C
	v_mfma_f32_16x16x32_fp8_fp8 v[76:79], a[62:63], a[14:15], v[76:79]// 00000000B4EC: D3F3004C 1D321D3E
	v_mfma_f32_16x16x32_fp8_fp8 v[88:91], a[64:65], a[8:9], v[88:91]// 00000000B4F4: D3F30058 1D621140
	buffer_load_dwordx4 a[216:219], v54, s[24:27], 0 offen     // 00000000B4FC: E05C1000 8086D836
	v_mfma_f32_16x16x32_fp8_fp8 v[88:91], a[66:67], a[10:11], v[88:91]// 00000000B504: D3F30058 1D621542
	v_mfma_f32_16x16x32_fp8_fp8 v[88:91], a[68:69], a[12:13], v[88:91]// 00000000B50C: D3F30058 1D621944
	v_mfma_f32_16x16x32_fp8_fp8 v[88:91], a[70:71], a[14:15], v[88:91]// 00000000B514: D3F30058 1D621D46
	v_mfma_f32_16x16x32_fp8_fp8 v[100:103], a[72:73], a[8:9], v[100:103]// 00000000B51C: D3F30064 1D921148
	buffer_load_dwordx4 a[220:223], v54, s[24:27], 0 offen offset:1024// 00000000B524: E05C1400 8086DC36
	v_mfma_f32_16x16x32_fp8_fp8 v[100:103], a[74:75], a[10:11], v[100:103]// 00000000B52C: D3F30064 1D92154A
	v_mfma_f32_16x16x32_fp8_fp8 v[100:103], a[76:77], a[12:13], v[100:103]// 00000000B534: D3F30064 1D92194C
	v_mfma_f32_16x16x32_fp8_fp8 v[100:103], a[78:79], a[14:15], v[100:103]// 00000000B53C: D3F30064 1D921D4E
	v_mfma_f32_16x16x32_fp8_fp8 v[112:115], a[80:81], a[8:9], v[112:115]// 00000000B544: D3F30070 1DC21150
	buffer_load_dwordx4 a[224:227], v55, s[24:27], 0 offen     // 00000000B54C: E05C1000 8086E037
	v_mfma_f32_16x16x32_fp8_fp8 v[112:115], a[82:83], a[10:11], v[112:115]// 00000000B554: D3F30070 1DC21552
	v_mfma_f32_16x16x32_fp8_fp8 v[112:115], a[84:85], a[12:13], v[112:115]// 00000000B55C: D3F30070 1DC21954
	v_mfma_f32_16x16x32_fp8_fp8 v[112:115], a[86:87], a[14:15], v[112:115]// 00000000B564: D3F30070 1DC21D56
	v_mfma_f32_16x16x32_fp8_fp8 v[124:127], a[88:89], a[8:9], v[124:127]// 00000000B56C: D3F3007C 1DF21158
	buffer_load_dwordx4 a[228:231], v55, s[24:27], 0 offen offset:1024// 00000000B574: E05C1400 8086E437
	v_mfma_f32_16x16x32_fp8_fp8 v[124:127], a[90:91], a[10:11], v[124:127]// 00000000B57C: D3F3007C 1DF2155A
	v_mfma_f32_16x16x32_fp8_fp8 v[124:127], a[92:93], a[12:13], v[124:127]// 00000000B584: D3F3007C 1DF2195C
	v_mfma_f32_16x16x32_fp8_fp8 v[124:127], a[94:95], a[14:15], v[124:127]// 00000000B58C: D3F3007C 1DF21D5E
	v_mfma_f32_16x16x32_fp8_fp8 v[136:139], a[96:97], a[8:9], v[136:139]// 00000000B594: D3F30088 1E221160
	buffer_load_dwordx4 a[232:235], v56, s[24:27], 0 offen     // 00000000B59C: E05C1000 8086E838
	v_mfma_f32_16x16x32_fp8_fp8 v[136:139], a[98:99], a[10:11], v[136:139]// 00000000B5A4: D3F30088 1E221562
	v_mfma_f32_16x16x32_fp8_fp8 v[136:139], a[100:101], a[12:13], v[136:139]// 00000000B5AC: D3F30088 1E221964
	v_mfma_f32_16x16x32_fp8_fp8 v[136:139], a[102:103], a[14:15], v[136:139]// 00000000B5B4: D3F30088 1E221D66
	v_mfma_f32_16x16x32_fp8_fp8 v[148:151], a[104:105], a[8:9], v[148:151]// 00000000B5BC: D3F30094 1E521168
	buffer_load_dwordx4 a[236:239], v56, s[24:27], 0 offen offset:1024// 00000000B5C4: E05C1400 8086EC38
	buffer_load_dword v43, s[20:23], 0 offen lds               // 00000000B5CC: E0511000 8005002B
	s_add_u32 m0, 0x100, s50                                   // 00000000B5D4: 807C32FF 00000100
	v_mfma_f32_16x16x32_fp8_fp8 v[148:151], a[106:107], a[10:11], v[148:151]// 00000000B5DC: D3F30094 1E52156A
	v_mfma_f32_16x16x32_fp8_fp8 v[148:151], a[108:109], a[12:13], v[148:151]// 00000000B5E4: D3F30094 1E52196C
	buffer_load_dword v44, s[20:23], 0 offen lds               // 00000000B5EC: E0511000 8005002C
	s_add_u32 m0, 0x200, s50                                   // 00000000B5F4: 807C32FF 00000200
	v_mfma_f32_16x16x32_fp8_fp8 v[148:151], a[110:111], a[14:15], v[148:151]// 00000000B5FC: D3F30094 1E521D6E
	v_mfma_f32_16x16x32_fp8_fp8 v[68:71], a[48:49], a[16:17], v[68:71]// 00000000B604: D3F30044 1D122130
	buffer_load_dword v45, s[20:23], 0 offen lds               // 00000000B60C: E0511000 8005002D
	s_add_u32 m0, 0x300, s50                                   // 00000000B614: 807C32FF 00000300
	v_mfma_f32_16x16x32_fp8_fp8 v[68:71], a[50:51], a[18:19], v[68:71]// 00000000B61C: D3F30044 1D122532
	v_mfma_f32_16x16x32_fp8_fp8 v[68:71], a[52:53], a[20:21], v[68:71]// 00000000B624: D3F30044 1D122934
	buffer_load_dword v46, s[20:23], 0 offen lds               // 00000000B62C: E0511000 8005002E
	s_add_u32 m0, 0x400, s50                                   // 00000000B634: 807C32FF 00000400
	v_mfma_f32_16x16x32_fp8_fp8 v[68:71], a[54:55], a[22:23], v[68:71]// 00000000B63C: D3F30044 1D122D36
	v_mfma_f32_16x16x32_fp8_fp8 v[80:83], a[56:57], a[16:17], v[80:83]// 00000000B644: D3F30050 1D422138
	buffer_load_dword v47, s[20:23], 0 offen lds               // 00000000B64C: E0511000 8005002F
	s_add_u32 m0, 0x500, s50                                   // 00000000B654: 807C32FF 00000500
	v_mfma_f32_16x16x32_fp8_fp8 v[80:83], a[58:59], a[18:19], v[80:83]// 00000000B65C: D3F30050 1D42253A
	v_mfma_f32_16x16x32_fp8_fp8 v[80:83], a[60:61], a[20:21], v[80:83]// 00000000B664: D3F30050 1D42293C
	buffer_load_dword v48, s[20:23], 0 offen lds               // 00000000B66C: E0511000 80050030
	s_add_u32 m0, 0, s48                                       // 00000000B674: 807C3080
	v_mfma_f32_16x16x32_fp8_fp8 v[80:83], a[62:63], a[22:23], v[80:83]// 00000000B678: D3F30050 1D422D3E
	v_mfma_f32_16x16x32_fp8_fp8 v[92:95], a[64:65], a[16:17], v[92:95]// 00000000B680: D3F3005C 1D722140
	v_mfma_f32_16x16x32_fp8_fp8 v[92:95], a[66:67], a[18:19], v[92:95]// 00000000B688: D3F3005C 1D722542
	v_mfma_f32_16x16x32_fp8_fp8 v[92:95], a[68:69], a[20:21], v[92:95]// 00000000B690: D3F3005C 1D722944
	v_mfma_f32_16x16x32_fp8_fp8 v[92:95], a[70:71], a[22:23], v[92:95]// 00000000B698: D3F3005C 1D722D46
	v_mfma_f32_16x16x32_fp8_fp8 v[104:107], a[72:73], a[16:17], v[104:107]// 00000000B6A0: D3F30068 1DA22148
	v_mfma_f32_16x16x32_fp8_fp8 v[104:107], a[74:75], a[18:19], v[104:107]// 00000000B6A8: D3F30068 1DA2254A
	v_mfma_f32_16x16x32_fp8_fp8 v[104:107], a[76:77], a[20:21], v[104:107]// 00000000B6B0: D3F30068 1DA2294C
	v_mfma_f32_16x16x32_fp8_fp8 v[104:107], a[78:79], a[22:23], v[104:107]// 00000000B6B8: D3F30068 1DA22D4E
	v_mfma_f32_16x16x32_fp8_fp8 v[116:119], a[80:81], a[16:17], v[116:119]// 00000000B6C0: D3F30074 1DD22150
	v_mfma_f32_16x16x32_fp8_fp8 v[116:119], a[82:83], a[18:19], v[116:119]// 00000000B6C8: D3F30074 1DD22552
	v_mfma_f32_16x16x32_fp8_fp8 v[116:119], a[84:85], a[20:21], v[116:119]// 00000000B6D0: D3F30074 1DD22954
	v_mfma_f32_16x16x32_fp8_fp8 v[116:119], a[86:87], a[22:23], v[116:119]// 00000000B6D8: D3F30074 1DD22D56
	v_mfma_f32_16x16x32_fp8_fp8 v[128:131], a[88:89], a[16:17], v[128:131]// 00000000B6E0: D3F30080 1E022158
	v_mfma_f32_16x16x32_fp8_fp8 v[128:131], a[90:91], a[18:19], v[128:131]// 00000000B6E8: D3F30080 1E02255A
	v_mfma_f32_16x16x32_fp8_fp8 v[128:131], a[92:93], a[20:21], v[128:131]// 00000000B6F0: D3F30080 1E02295C
	v_mfma_f32_16x16x32_fp8_fp8 v[128:131], a[94:95], a[22:23], v[128:131]// 00000000B6F8: D3F30080 1E022D5E
	v_mfma_f32_16x16x32_fp8_fp8 v[140:143], a[96:97], a[16:17], v[140:143]// 00000000B700: D3F3008C 1E322160
	v_mfma_f32_16x16x32_fp8_fp8 v[140:143], a[98:99], a[18:19], v[140:143]// 00000000B708: D3F3008C 1E322562
	v_mfma_f32_16x16x32_fp8_fp8 v[140:143], a[100:101], a[20:21], v[140:143]// 00000000B710: D3F3008C 1E322964
	v_mfma_f32_16x16x32_fp8_fp8 v[140:143], a[102:103], a[22:23], v[140:143]// 00000000B718: D3F3008C 1E322D66
	v_mfma_f32_16x16x32_fp8_fp8 v[152:155], a[104:105], a[16:17], v[152:155]// 00000000B720: D3F30098 1E622168
	v_mfma_f32_16x16x32_fp8_fp8 v[152:155], a[106:107], a[18:19], v[152:155]// 00000000B728: D3F30098 1E62256A
	v_mfma_f32_16x16x32_fp8_fp8 v[152:155], a[108:109], a[20:21], v[152:155]// 00000000B730: D3F30098 1E62296C
	v_mfma_f32_16x16x32_fp8_fp8 v[152:155], a[110:111], a[22:23], v[152:155]// 00000000B738: D3F30098 1E622D6E
	s_waitcnt vmcnt(22)                                        // 00000000B740: BF8C4F76
	s_barrier                                                  // 00000000B744: BF8A0000
	v_mfma_f32_16x16x32_fp8_fp8 v[156:159], a[112:113], a[0:1], v[156:159]// 00000000B748: D3F3009C 1E720170
	buffer_load_dwordx4 a[48:51], v49, s[84:87], 0 offen       // 00000000B750: E05C1000 80953031
	v_mfma_f32_16x16x32_fp8_fp8 v[156:159], a[114:115], a[2:3], v[156:159]// 00000000B758: D3F3009C 1E720572
	v_mfma_f32_16x16x32_fp8_fp8 v[156:159], a[116:117], a[4:5], v[156:159]// 00000000B760: D3F3009C 1E720974
	ds_read_b128 a[24:27], v2 offset:6272                      // 00000000B768: DBFE1880 18000002
	ds_read_b128 a[28:31], v2 offset:6336                      // 00000000B770: DBFE18C0 1C000002
	v_mfma_f32_16x16x32_fp8_fp8 v[156:159], a[118:119], a[6:7], v[156:159]// 00000000B778: D3F3009C 1E720D76
	v_mfma_f32_16x16x32_fp8_fp8 v[168:171], a[120:121], a[0:1], v[168:171]// 00000000B780: D3F300A8 1EA20178
	buffer_load_dwordx4 a[52:55], v49, s[84:87], 0 offen offset:1024// 00000000B788: E05C1400 80953431
	v_mfma_f32_16x16x32_fp8_fp8 v[168:171], a[122:123], a[2:3], v[168:171]// 00000000B790: D3F300A8 1EA2057A
	v_mfma_f32_16x16x32_fp8_fp8 v[168:171], a[124:125], a[4:5], v[168:171]// 00000000B798: D3F300A8 1EA2097C
	ds_read_b128 a[32:35], v2 offset:6784                      // 00000000B7A0: DBFE1A80 20000002
	ds_read_b128 a[36:39], v2 offset:6848                      // 00000000B7A8: DBFE1AC0 24000002
	v_mfma_f32_16x16x32_fp8_fp8 v[168:171], a[126:127], a[6:7], v[168:171]// 00000000B7B0: D3F300A8 1EA20D7E
	v_mfma_f32_16x16x32_fp8_fp8 v[180:183], a[128:129], a[0:1], v[180:183]// 00000000B7B8: D3F300B4 1ED20180
	buffer_load_dwordx4 a[56:59], v50, s[84:87], 0 offen       // 00000000B7C0: E05C1000 80953832
	v_mfma_f32_16x16x32_fp8_fp8 v[180:183], a[130:131], a[2:3], v[180:183]// 00000000B7C8: D3F300B4 1ED20582
	v_mfma_f32_16x16x32_fp8_fp8 v[180:183], a[132:133], a[4:5], v[180:183]// 00000000B7D0: D3F300B4 1ED20984
	ds_read_b128 a[40:43], v2 offset:7296                      // 00000000B7D8: DBFE1C80 28000002
	ds_read_b128 a[44:47], v2 offset:7360                      // 00000000B7E0: DBFE1CC0 2C000002
	v_mfma_f32_16x16x32_fp8_fp8 v[180:183], a[134:135], a[6:7], v[180:183]// 00000000B7E8: D3F300B4 1ED20D86
	v_mfma_f32_16x16x32_fp8_fp8 v[192:195], a[136:137], a[0:1], v[192:195]// 00000000B7F0: D3F300C0 1F020188
	buffer_load_dwordx4 a[60:63], v50, s[84:87], 0 offen offset:1024// 00000000B7F8: E05C1400 80953C32
	v_mfma_f32_16x16x32_fp8_fp8 v[192:195], a[138:139], a[2:3], v[192:195]// 00000000B800: D3F300C0 1F02058A
	v_mfma_f32_16x16x32_fp8_fp8 v[192:195], a[140:141], a[4:5], v[192:195]// 00000000B808: D3F300C0 1F02098C
	v_mfma_f32_16x16x32_fp8_fp8 v[192:195], a[142:143], a[6:7], v[192:195]// 00000000B810: D3F300C0 1F020D8E
	v_mfma_f32_16x16x32_fp8_fp8 v[204:207], a[144:145], a[0:1], v[204:207]// 00000000B818: D3F300CC 1F320190
	buffer_load_dwordx4 a[64:67], v51, s[84:87], 0 offen       // 00000000B820: E05C1000 80954033
	v_mfma_f32_16x16x32_fp8_fp8 v[204:207], a[146:147], a[2:3], v[204:207]// 00000000B828: D3F300CC 1F320592
	v_mfma_f32_16x16x32_fp8_fp8 v[204:207], a[148:149], a[4:5], v[204:207]// 00000000B830: D3F300CC 1F320994
	v_mfma_f32_16x16x32_fp8_fp8 v[204:207], a[150:151], a[6:7], v[204:207]// 00000000B838: D3F300CC 1F320D96
	v_mfma_f32_16x16x32_fp8_fp8 v[216:219], a[152:153], a[0:1], v[216:219]// 00000000B840: D3F300D8 1F620198
	buffer_load_dwordx4 a[68:71], v51, s[84:87], 0 offen offset:1024// 00000000B848: E05C1400 80954433
	v_mfma_f32_16x16x32_fp8_fp8 v[216:219], a[154:155], a[2:3], v[216:219]// 00000000B850: D3F300D8 1F62059A
	v_mfma_f32_16x16x32_fp8_fp8 v[216:219], a[156:157], a[4:5], v[216:219]// 00000000B858: D3F300D8 1F62099C
	v_mfma_f32_16x16x32_fp8_fp8 v[216:219], a[158:159], a[6:7], v[216:219]// 00000000B860: D3F300D8 1F620D9E
	v_mfma_f32_16x16x32_fp8_fp8 v[228:231], a[160:161], a[0:1], v[228:231]// 00000000B868: D3F300E4 1F9201A0
	buffer_load_dwordx4 a[72:75], v52, s[84:87], 0 offen       // 00000000B870: E05C1000 80954834
	v_mfma_f32_16x16x32_fp8_fp8 v[228:231], a[162:163], a[2:3], v[228:231]// 00000000B878: D3F300E4 1F9205A2
	v_mfma_f32_16x16x32_fp8_fp8 v[228:231], a[164:165], a[4:5], v[228:231]// 00000000B880: D3F300E4 1F9209A4
	v_mfma_f32_16x16x32_fp8_fp8 v[228:231], a[166:167], a[6:7], v[228:231]// 00000000B888: D3F300E4 1F920DA6
	v_mfma_f32_16x16x32_fp8_fp8 v[240:243], a[168:169], a[0:1], v[240:243]// 00000000B890: D3F300F0 1FC201A8
	buffer_load_dwordx4 a[76:79], v52, s[84:87], 0 offen offset:1024// 00000000B898: E05C1400 80954C34
	v_mfma_f32_16x16x32_fp8_fp8 v[240:243], a[170:171], a[2:3], v[240:243]// 00000000B8A0: D3F300F0 1FC205AA
	v_mfma_f32_16x16x32_fp8_fp8 v[240:243], a[172:173], a[4:5], v[240:243]// 00000000B8A8: D3F300F0 1FC209AC
	v_mfma_f32_16x16x32_fp8_fp8 v[240:243], a[174:175], a[6:7], v[240:243]// 00000000B8B0: D3F300F0 1FC20DAE
	v_mfma_f32_16x16x32_fp8_fp8 v[160:163], a[112:113], a[8:9], v[160:163]// 00000000B8B8: D3F300A0 1E821170
	buffer_load_dwordx4 a[80:83], v53, s[84:87], 0 offen       // 00000000B8C0: E05C1000 80955035
	v_mfma_f32_16x16x32_fp8_fp8 v[160:163], a[114:115], a[10:11], v[160:163]// 00000000B8C8: D3F300A0 1E821572
	v_mfma_f32_16x16x32_fp8_fp8 v[160:163], a[116:117], a[12:13], v[160:163]// 00000000B8D0: D3F300A0 1E821974
	v_mfma_f32_16x16x32_fp8_fp8 v[160:163], a[118:119], a[14:15], v[160:163]// 00000000B8D8: D3F300A0 1E821D76
	v_mfma_f32_16x16x32_fp8_fp8 v[172:175], a[120:121], a[8:9], v[172:175]// 00000000B8E0: D3F300AC 1EB21178
	buffer_load_dwordx4 a[84:87], v53, s[84:87], 0 offen offset:1024// 00000000B8E8: E05C1400 80955435
	v_mfma_f32_16x16x32_fp8_fp8 v[172:175], a[122:123], a[10:11], v[172:175]// 00000000B8F0: D3F300AC 1EB2157A
	v_mfma_f32_16x16x32_fp8_fp8 v[172:175], a[124:125], a[12:13], v[172:175]// 00000000B8F8: D3F300AC 1EB2197C
	v_mfma_f32_16x16x32_fp8_fp8 v[172:175], a[126:127], a[14:15], v[172:175]// 00000000B900: D3F300AC 1EB21D7E
	v_mfma_f32_16x16x32_fp8_fp8 v[184:187], a[128:129], a[8:9], v[184:187]// 00000000B908: D3F300B8 1EE21180
	buffer_load_dwordx4 a[88:91], v54, s[84:87], 0 offen       // 00000000B910: E05C1000 80955836
	v_mfma_f32_16x16x32_fp8_fp8 v[184:187], a[130:131], a[10:11], v[184:187]// 00000000B918: D3F300B8 1EE21582
	v_mfma_f32_16x16x32_fp8_fp8 v[184:187], a[132:133], a[12:13], v[184:187]// 00000000B920: D3F300B8 1EE21984
	v_mfma_f32_16x16x32_fp8_fp8 v[184:187], a[134:135], a[14:15], v[184:187]// 00000000B928: D3F300B8 1EE21D86
	v_mfma_f32_16x16x32_fp8_fp8 v[196:199], a[136:137], a[8:9], v[196:199]// 00000000B930: D3F300C4 1F121188
	buffer_load_dwordx4 a[92:95], v54, s[84:87], 0 offen offset:1024// 00000000B938: E05C1400 80955C36
	v_mfma_f32_16x16x32_fp8_fp8 v[196:199], a[138:139], a[10:11], v[196:199]// 00000000B940: D3F300C4 1F12158A
	v_mfma_f32_16x16x32_fp8_fp8 v[196:199], a[140:141], a[12:13], v[196:199]// 00000000B948: D3F300C4 1F12198C
	v_mfma_f32_16x16x32_fp8_fp8 v[196:199], a[142:143], a[14:15], v[196:199]// 00000000B950: D3F300C4 1F121D8E
	v_mfma_f32_16x16x32_fp8_fp8 v[208:211], a[144:145], a[8:9], v[208:211]// 00000000B958: D3F300D0 1F421190
	buffer_load_dwordx4 a[96:99], v55, s[84:87], 0 offen       // 00000000B960: E05C1000 80956037
	v_mfma_f32_16x16x32_fp8_fp8 v[208:211], a[146:147], a[10:11], v[208:211]// 00000000B968: D3F300D0 1F421592
	v_mfma_f32_16x16x32_fp8_fp8 v[208:211], a[148:149], a[12:13], v[208:211]// 00000000B970: D3F300D0 1F421994
	v_mfma_f32_16x16x32_fp8_fp8 v[208:211], a[150:151], a[14:15], v[208:211]// 00000000B978: D3F300D0 1F421D96
	v_mfma_f32_16x16x32_fp8_fp8 v[220:223], a[152:153], a[8:9], v[220:223]// 00000000B980: D3F300DC 1F721198
	buffer_load_dwordx4 a[100:103], v55, s[84:87], 0 offen offset:1024// 00000000B988: E05C1400 80956437
	v_mfma_f32_16x16x32_fp8_fp8 v[220:223], a[154:155], a[10:11], v[220:223]// 00000000B990: D3F300DC 1F72159A
	v_mfma_f32_16x16x32_fp8_fp8 v[220:223], a[156:157], a[12:13], v[220:223]// 00000000B998: D3F300DC 1F72199C
	v_mfma_f32_16x16x32_fp8_fp8 v[220:223], a[158:159], a[14:15], v[220:223]// 00000000B9A0: D3F300DC 1F721D9E
	v_mfma_f32_16x16x32_fp8_fp8 v[232:235], a[160:161], a[8:9], v[232:235]// 00000000B9A8: D3F300E8 1FA211A0
	buffer_load_dwordx4 a[104:107], v56, s[84:87], 0 offen     // 00000000B9B0: E05C1000 80956838
	v_mfma_f32_16x16x32_fp8_fp8 v[232:235], a[162:163], a[10:11], v[232:235]// 00000000B9B8: D3F300E8 1FA215A2
	v_mfma_f32_16x16x32_fp8_fp8 v[232:235], a[164:165], a[12:13], v[232:235]// 00000000B9C0: D3F300E8 1FA219A4
	v_mfma_f32_16x16x32_fp8_fp8 v[232:235], a[166:167], a[14:15], v[232:235]// 00000000B9C8: D3F300E8 1FA21DA6
	v_mfma_f32_16x16x32_fp8_fp8 v[244:247], a[168:169], a[8:9], v[244:247]// 00000000B9D0: D3F300F4 1FD211A8
	buffer_load_dwordx4 a[108:111], v56, s[84:87], 0 offen offset:1024// 00000000B9D8: E05C1400 80956C38
	v_mfma_f32_16x16x32_fp8_fp8 v[244:247], a[170:171], a[10:11], v[244:247]// 00000000B9E0: D3F300F4 1FD215AA
	v_mfma_f32_16x16x32_fp8_fp8 v[244:247], a[172:173], a[12:13], v[244:247]// 00000000B9E8: D3F300F4 1FD219AC
	v_mfma_f32_16x16x32_fp8_fp8 v[244:247], a[174:175], a[14:15], v[244:247]// 00000000B9F0: D3F300F4 1FD21DAE
	v_mfma_f32_16x16x32_fp8_fp8 v[164:167], a[112:113], a[16:17], v[164:167]// 00000000B9F8: D3F300A4 1E922170
	v_mfma_f32_16x16x32_fp8_fp8 v[164:167], a[114:115], a[18:19], v[164:167]// 00000000BA00: D3F300A4 1E922572
	v_mfma_f32_16x16x32_fp8_fp8 v[164:167], a[116:117], a[20:21], v[164:167]// 00000000BA08: D3F300A4 1E922974
	v_mfma_f32_16x16x32_fp8_fp8 v[164:167], a[118:119], a[22:23], v[164:167]// 00000000BA10: D3F300A4 1E922D76
	v_mfma_f32_16x16x32_fp8_fp8 v[176:179], a[120:121], a[16:17], v[176:179]// 00000000BA18: D3F300B0 1EC22178
	v_mfma_f32_16x16x32_fp8_fp8 v[176:179], a[122:123], a[18:19], v[176:179]// 00000000BA20: D3F300B0 1EC2257A
	v_mfma_f32_16x16x32_fp8_fp8 v[176:179], a[124:125], a[20:21], v[176:179]// 00000000BA28: D3F300B0 1EC2297C
	v_mfma_f32_16x16x32_fp8_fp8 v[176:179], a[126:127], a[22:23], v[176:179]// 00000000BA30: D3F300B0 1EC22D7E
	v_mfma_f32_16x16x32_fp8_fp8 v[188:191], a[128:129], a[16:17], v[188:191]// 00000000BA38: D3F300BC 1EF22180
	v_mfma_f32_16x16x32_fp8_fp8 v[188:191], a[130:131], a[18:19], v[188:191]// 00000000BA40: D3F300BC 1EF22582
	v_mfma_f32_16x16x32_fp8_fp8 v[188:191], a[132:133], a[20:21], v[188:191]// 00000000BA48: D3F300BC 1EF22984
	v_mfma_f32_16x16x32_fp8_fp8 v[188:191], a[134:135], a[22:23], v[188:191]// 00000000BA50: D3F300BC 1EF22D86
	v_mfma_f32_16x16x32_fp8_fp8 v[200:203], a[136:137], a[16:17], v[200:203]// 00000000BA58: D3F300C8 1F222188
	v_mfma_f32_16x16x32_fp8_fp8 v[200:203], a[138:139], a[18:19], v[200:203]// 00000000BA60: D3F300C8 1F22258A
	v_mfma_f32_16x16x32_fp8_fp8 v[200:203], a[140:141], a[20:21], v[200:203]// 00000000BA68: D3F300C8 1F22298C
	v_mfma_f32_16x16x32_fp8_fp8 v[200:203], a[142:143], a[22:23], v[200:203]// 00000000BA70: D3F300C8 1F222D8E
	v_mfma_f32_16x16x32_fp8_fp8 v[212:215], a[144:145], a[16:17], v[212:215]// 00000000BA78: D3F300D4 1F522190
	v_mfma_f32_16x16x32_fp8_fp8 v[212:215], a[146:147], a[18:19], v[212:215]// 00000000BA80: D3F300D4 1F522592
	v_mfma_f32_16x16x32_fp8_fp8 v[212:215], a[148:149], a[20:21], v[212:215]// 00000000BA88: D3F300D4 1F522994
	v_mfma_f32_16x16x32_fp8_fp8 v[212:215], a[150:151], a[22:23], v[212:215]// 00000000BA90: D3F300D4 1F522D96
	v_mfma_f32_16x16x32_fp8_fp8 v[224:227], a[152:153], a[16:17], v[224:227]// 00000000BA98: D3F300E0 1F822198
	v_mfma_f32_16x16x32_fp8_fp8 v[224:227], a[154:155], a[18:19], v[224:227]// 00000000BAA0: D3F300E0 1F82259A
	v_mfma_f32_16x16x32_fp8_fp8 v[224:227], a[156:157], a[20:21], v[224:227]// 00000000BAA8: D3F300E0 1F82299C
	v_mfma_f32_16x16x32_fp8_fp8 v[224:227], a[158:159], a[22:23], v[224:227]// 00000000BAB0: D3F300E0 1F822D9E
	v_mfma_f32_16x16x32_fp8_fp8 v[236:239], a[160:161], a[16:17], v[236:239]// 00000000BAB8: D3F300EC 1FB221A0
	s_add_u32 s60, 0x180, s80                                  // 00000000BAC0: 803C50FF 00000180
	s_cmp_lt_u32 s60, s81                                      // 00000000BAC8: BF0A513C
	s_cselect_b32 s57, s57, 0                                  // 00000000BACC: 85398039
	v_mfma_f32_16x16x32_fp8_fp8 v[236:239], a[162:163], a[18:19], v[236:239]// 00000000BAD0: D3F300EC 1FB225A2
	s_add_u32 s60, 0x100, s80                                  // 00000000BAD8: 803C50FF 00000100
	s_cmp_lt_u32 s60, s81                                      // 00000000BAE0: BF0A513C
	s_cselect_b32 s58, s58, 0                                  // 00000000BAE4: 853A803A
	v_mfma_f32_16x16x32_fp8_fp8 v[236:239], a[164:165], a[20:21], v[236:239]// 00000000BAE8: D3F300EC 1FB229A4
	s_add_u32 s60, 0x100, s80                                  // 00000000BAF0: 803C50FF 00000100
	s_cmp_lt_u32 s60, s81                                      // 00000000BAF8: BF0A513C
	s_cselect_b32 s83, s83, 0                                  // 00000000BAFC: 85538053
	v_mfma_f32_16x16x32_fp8_fp8 v[236:239], a[166:167], a[22:23], v[236:239]// 00000000BB00: D3F300EC 1FB22DA6
	s_add_u32 s24, s58, s24                                    // 00000000BB08: 8018183A
	s_addc_u32 s25, 0, s25                                     // 00000000BB0C: 82191980
	v_mfma_f32_16x16x32_fp8_fp8 v[248:251], a[168:169], a[16:17], v[248:251]// 00000000BB10: D3F300F8 1FE221A8
	s_add_u32 s20, s57, s20                                    // 00000000BB18: 80141439
	s_addc_u32 s21, 0, s21                                     // 00000000BB1C: 82151580
	v_mfma_f32_16x16x32_fp8_fp8 v[248:251], a[170:171], a[18:19], v[248:251]// 00000000BB20: D3F300F8 1FE225AA
	s_add_u32 s84, s83, s84                                    // 00000000BB28: 80545453
	s_addc_u32 s85, 0, s85                                     // 00000000BB2C: 82555580
	v_mfma_f32_16x16x32_fp8_fp8 v[248:251], a[172:173], a[20:21], v[248:251]// 00000000BB30: D3F300F8 1FE229AC
	v_mfma_f32_16x16x32_fp8_fp8 v[248:251], a[174:175], a[22:23], v[248:251]// 00000000BB38: D3F300F8 1FE22DAE
	s_addk_i32 s80, 0x80                                       // 00000000BB40: B7500080
	s_cmp_lt_i32 s80, s81                                      // 00000000BB44: BF045150
	s_cbranch_scc0 label_2E3E                                  // 00000000BB48: BF8409E8
	s_waitcnt vmcnt(22) lgkmcnt(0)                             // 00000000BB4C: BF8C4076
	v_mfma_f32_16x16x32_fp8_fp8 v[60:63], a[176:177], a[24:25], v[60:63]// 00000000BB50: D3F3003C 1CF231B0
	buffer_load_dwordx4 a[112:115], v49, s[24:27], 0 offen     // 00000000BB58: E05C1000 80867031
	v_mfma_f32_16x16x32_fp8_fp8 v[60:63], a[178:179], a[26:27], v[60:63]// 00000000BB60: D3F3003C 1CF235B2
	v_mfma_f32_16x16x32_fp8_fp8 v[60:63], a[180:181], a[28:29], v[60:63]// 00000000BB68: D3F3003C 1CF239B4
	v_mfma_f32_16x16x32_fp8_fp8 v[60:63], a[182:183], a[30:31], v[60:63]// 00000000BB70: D3F3003C 1CF23DB6
	v_mfma_f32_16x16x32_fp8_fp8 v[72:75], a[184:185], a[24:25], v[72:75]// 00000000BB78: D3F30048 1D2231B8
	buffer_load_dwordx4 a[116:119], v49, s[24:27], 0 offen offset:1024// 00000000BB80: E05C1400 80867431
	v_mfma_f32_16x16x32_fp8_fp8 v[72:75], a[186:187], a[26:27], v[72:75]// 00000000BB88: D3F30048 1D2235BA
	v_mfma_f32_16x16x32_fp8_fp8 v[72:75], a[188:189], a[28:29], v[72:75]// 00000000BB90: D3F30048 1D2239BC
	v_mfma_f32_16x16x32_fp8_fp8 v[72:75], a[190:191], a[30:31], v[72:75]// 00000000BB98: D3F30048 1D223DBE
	v_mfma_f32_16x16x32_fp8_fp8 v[84:87], a[192:193], a[24:25], v[84:87]// 00000000BBA0: D3F30054 1D5231C0
	buffer_load_dwordx4 a[120:123], v50, s[24:27], 0 offen     // 00000000BBA8: E05C1000 80867832
	v_mfma_f32_16x16x32_fp8_fp8 v[84:87], a[194:195], a[26:27], v[84:87]// 00000000BBB0: D3F30054 1D5235C2
	v_mfma_f32_16x16x32_fp8_fp8 v[84:87], a[196:197], a[28:29], v[84:87]// 00000000BBB8: D3F30054 1D5239C4
	v_mfma_f32_16x16x32_fp8_fp8 v[84:87], a[198:199], a[30:31], v[84:87]// 00000000BBC0: D3F30054 1D523DC6
	v_mfma_f32_16x16x32_fp8_fp8 v[96:99], a[200:201], a[24:25], v[96:99]// 00000000BBC8: D3F30060 1D8231C8
	buffer_load_dwordx4 a[124:127], v50, s[24:27], 0 offen offset:1024// 00000000BBD0: E05C1400 80867C32
	v_mfma_f32_16x16x32_fp8_fp8 v[96:99], a[202:203], a[26:27], v[96:99]// 00000000BBD8: D3F30060 1D8235CA
	v_mfma_f32_16x16x32_fp8_fp8 v[96:99], a[204:205], a[28:29], v[96:99]// 00000000BBE0: D3F30060 1D8239CC
	v_mfma_f32_16x16x32_fp8_fp8 v[96:99], a[206:207], a[30:31], v[96:99]// 00000000BBE8: D3F30060 1D823DCE
	v_mfma_f32_16x16x32_fp8_fp8 v[108:111], a[208:209], a[24:25], v[108:111]// 00000000BBF0: D3F3006C 1DB231D0
	buffer_load_dwordx4 a[128:131], v51, s[24:27], 0 offen     // 00000000BBF8: E05C1000 80868033
	v_mfma_f32_16x16x32_fp8_fp8 v[108:111], a[210:211], a[26:27], v[108:111]// 00000000BC00: D3F3006C 1DB235D2
	v_mfma_f32_16x16x32_fp8_fp8 v[108:111], a[212:213], a[28:29], v[108:111]// 00000000BC08: D3F3006C 1DB239D4
	v_mfma_f32_16x16x32_fp8_fp8 v[108:111], a[214:215], a[30:31], v[108:111]// 00000000BC10: D3F3006C 1DB23DD6
	v_mfma_f32_16x16x32_fp8_fp8 v[120:123], a[216:217], a[24:25], v[120:123]// 00000000BC18: D3F30078 1DE231D8
	buffer_load_dwordx4 a[132:135], v51, s[24:27], 0 offen offset:1024// 00000000BC20: E05C1400 80868433
	v_mfma_f32_16x16x32_fp8_fp8 v[120:123], a[218:219], a[26:27], v[120:123]// 00000000BC28: D3F30078 1DE235DA
	v_mfma_f32_16x16x32_fp8_fp8 v[120:123], a[220:221], a[28:29], v[120:123]// 00000000BC30: D3F30078 1DE239DC
	v_mfma_f32_16x16x32_fp8_fp8 v[120:123], a[222:223], a[30:31], v[120:123]// 00000000BC38: D3F30078 1DE23DDE
	v_mfma_f32_16x16x32_fp8_fp8 v[132:135], a[224:225], a[24:25], v[132:135]// 00000000BC40: D3F30084 1E1231E0
	buffer_load_dwordx4 a[136:139], v52, s[24:27], 0 offen     // 00000000BC48: E05C1000 80868834
	v_mfma_f32_16x16x32_fp8_fp8 v[132:135], a[226:227], a[26:27], v[132:135]// 00000000BC50: D3F30084 1E1235E2
	v_mfma_f32_16x16x32_fp8_fp8 v[132:135], a[228:229], a[28:29], v[132:135]// 00000000BC58: D3F30084 1E1239E4
	v_mfma_f32_16x16x32_fp8_fp8 v[132:135], a[230:231], a[30:31], v[132:135]// 00000000BC60: D3F30084 1E123DE6
	v_mfma_f32_16x16x32_fp8_fp8 v[144:147], a[232:233], a[24:25], v[144:147]// 00000000BC68: D3F30090 1E4231E8
	buffer_load_dwordx4 a[140:143], v52, s[24:27], 0 offen offset:1024// 00000000BC70: E05C1400 80868C34
	v_mfma_f32_16x16x32_fp8_fp8 v[144:147], a[234:235], a[26:27], v[144:147]// 00000000BC78: D3F30090 1E4235EA
	v_mfma_f32_16x16x32_fp8_fp8 v[144:147], a[236:237], a[28:29], v[144:147]// 00000000BC80: D3F30090 1E4239EC
	v_mfma_f32_16x16x32_fp8_fp8 v[144:147], a[238:239], a[30:31], v[144:147]// 00000000BC88: D3F30090 1E423DEE
	v_mfma_f32_16x16x32_fp8_fp8 v[64:67], a[176:177], a[32:33], v[64:67]// 00000000BC90: D3F30040 1D0241B0
	buffer_load_dwordx4 a[144:147], v53, s[24:27], 0 offen     // 00000000BC98: E05C1000 80869035
	v_mfma_f32_16x16x32_fp8_fp8 v[64:67], a[178:179], a[34:35], v[64:67]// 00000000BCA0: D3F30040 1D0245B2
	v_mfma_f32_16x16x32_fp8_fp8 v[64:67], a[180:181], a[36:37], v[64:67]// 00000000BCA8: D3F30040 1D0249B4
	v_mfma_f32_16x16x32_fp8_fp8 v[64:67], a[182:183], a[38:39], v[64:67]// 00000000BCB0: D3F30040 1D024DB6
	v_mfma_f32_16x16x32_fp8_fp8 v[76:79], a[184:185], a[32:33], v[76:79]// 00000000BCB8: D3F3004C 1D3241B8
	buffer_load_dwordx4 a[148:151], v53, s[24:27], 0 offen offset:1024// 00000000BCC0: E05C1400 80869435
	v_mfma_f32_16x16x32_fp8_fp8 v[76:79], a[186:187], a[34:35], v[76:79]// 00000000BCC8: D3F3004C 1D3245BA
	v_mfma_f32_16x16x32_fp8_fp8 v[76:79], a[188:189], a[36:37], v[76:79]// 00000000BCD0: D3F3004C 1D3249BC
	v_mfma_f32_16x16x32_fp8_fp8 v[76:79], a[190:191], a[38:39], v[76:79]// 00000000BCD8: D3F3004C 1D324DBE
	v_mfma_f32_16x16x32_fp8_fp8 v[88:91], a[192:193], a[32:33], v[88:91]// 00000000BCE0: D3F30058 1D6241C0
	buffer_load_dwordx4 a[152:155], v54, s[24:27], 0 offen     // 00000000BCE8: E05C1000 80869836
	v_mfma_f32_16x16x32_fp8_fp8 v[88:91], a[194:195], a[34:35], v[88:91]// 00000000BCF0: D3F30058 1D6245C2
	v_mfma_f32_16x16x32_fp8_fp8 v[88:91], a[196:197], a[36:37], v[88:91]// 00000000BCF8: D3F30058 1D6249C4
	v_mfma_f32_16x16x32_fp8_fp8 v[88:91], a[198:199], a[38:39], v[88:91]// 00000000BD00: D3F30058 1D624DC6
	v_mfma_f32_16x16x32_fp8_fp8 v[100:103], a[200:201], a[32:33], v[100:103]// 00000000BD08: D3F30064 1D9241C8
	buffer_load_dwordx4 a[156:159], v54, s[24:27], 0 offen offset:1024// 00000000BD10: E05C1400 80869C36
	v_mfma_f32_16x16x32_fp8_fp8 v[100:103], a[202:203], a[34:35], v[100:103]// 00000000BD18: D3F30064 1D9245CA
	v_mfma_f32_16x16x32_fp8_fp8 v[100:103], a[204:205], a[36:37], v[100:103]// 00000000BD20: D3F30064 1D9249CC
	v_mfma_f32_16x16x32_fp8_fp8 v[100:103], a[206:207], a[38:39], v[100:103]// 00000000BD28: D3F30064 1D924DCE
	v_mfma_f32_16x16x32_fp8_fp8 v[112:115], a[208:209], a[32:33], v[112:115]// 00000000BD30: D3F30070 1DC241D0
	buffer_load_dwordx4 a[160:163], v55, s[24:27], 0 offen     // 00000000BD38: E05C1000 8086A037
	v_mfma_f32_16x16x32_fp8_fp8 v[112:115], a[210:211], a[34:35], v[112:115]// 00000000BD40: D3F30070 1DC245D2
	v_mfma_f32_16x16x32_fp8_fp8 v[112:115], a[212:213], a[36:37], v[112:115]// 00000000BD48: D3F30070 1DC249D4
	v_mfma_f32_16x16x32_fp8_fp8 v[112:115], a[214:215], a[38:39], v[112:115]// 00000000BD50: D3F30070 1DC24DD6
	v_mfma_f32_16x16x32_fp8_fp8 v[124:127], a[216:217], a[32:33], v[124:127]// 00000000BD58: D3F3007C 1DF241D8
	buffer_load_dwordx4 a[164:167], v55, s[24:27], 0 offen offset:1024// 00000000BD60: E05C1400 8086A437
	v_mfma_f32_16x16x32_fp8_fp8 v[124:127], a[218:219], a[34:35], v[124:127]// 00000000BD68: D3F3007C 1DF245DA
	v_mfma_f32_16x16x32_fp8_fp8 v[124:127], a[220:221], a[36:37], v[124:127]// 00000000BD70: D3F3007C 1DF249DC
	v_mfma_f32_16x16x32_fp8_fp8 v[124:127], a[222:223], a[38:39], v[124:127]// 00000000BD78: D3F3007C 1DF24DDE
	v_mfma_f32_16x16x32_fp8_fp8 v[136:139], a[224:225], a[32:33], v[136:139]// 00000000BD80: D3F30088 1E2241E0
	buffer_load_dwordx4 a[168:171], v56, s[24:27], 0 offen     // 00000000BD88: E05C1000 8086A838
	v_mfma_f32_16x16x32_fp8_fp8 v[136:139], a[226:227], a[34:35], v[136:139]// 00000000BD90: D3F30088 1E2245E2
	v_mfma_f32_16x16x32_fp8_fp8 v[136:139], a[228:229], a[36:37], v[136:139]// 00000000BD98: D3F30088 1E2249E4
	v_mfma_f32_16x16x32_fp8_fp8 v[136:139], a[230:231], a[38:39], v[136:139]// 00000000BDA0: D3F30088 1E224DE6
	v_mfma_f32_16x16x32_fp8_fp8 v[148:151], a[232:233], a[32:33], v[148:151]// 00000000BDA8: D3F30094 1E5241E8
	buffer_load_dwordx4 a[172:175], v56, s[24:27], 0 offen offset:1024// 00000000BDB0: E05C1400 8086AC38
	buffer_load_dword v43, s[20:23], 0 offen lds               // 00000000BDB8: E0511000 8005002B
	s_add_u32 m0, 0x100, s48                                   // 00000000BDC0: 807C30FF 00000100
	v_mfma_f32_16x16x32_fp8_fp8 v[148:151], a[234:235], a[34:35], v[148:151]// 00000000BDC8: D3F30094 1E5245EA
	v_mfma_f32_16x16x32_fp8_fp8 v[148:151], a[236:237], a[36:37], v[148:151]// 00000000BDD0: D3F30094 1E5249EC
	buffer_load_dword v44, s[20:23], 0 offen lds               // 00000000BDD8: E0511000 8005002C
	s_add_u32 m0, 0x200, s48                                   // 00000000BDE0: 807C30FF 00000200
	v_mfma_f32_16x16x32_fp8_fp8 v[148:151], a[238:239], a[38:39], v[148:151]// 00000000BDE8: D3F30094 1E524DEE
	v_mfma_f32_16x16x32_fp8_fp8 v[68:71], a[176:177], a[40:41], v[68:71]// 00000000BDF0: D3F30044 1D1251B0
	buffer_load_dword v45, s[20:23], 0 offen lds               // 00000000BDF8: E0511000 8005002D
	s_add_u32 m0, 0x300, s48                                   // 00000000BE00: 807C30FF 00000300
	v_mfma_f32_16x16x32_fp8_fp8 v[68:71], a[178:179], a[42:43], v[68:71]// 00000000BE08: D3F30044 1D1255B2
	v_mfma_f32_16x16x32_fp8_fp8 v[68:71], a[180:181], a[44:45], v[68:71]// 00000000BE10: D3F30044 1D1259B4
	buffer_load_dword v46, s[20:23], 0 offen lds               // 00000000BE18: E0511000 8005002E
	s_add_u32 m0, 0x400, s48                                   // 00000000BE20: 807C30FF 00000400
	v_mfma_f32_16x16x32_fp8_fp8 v[68:71], a[182:183], a[46:47], v[68:71]// 00000000BE28: D3F30044 1D125DB6
	v_mfma_f32_16x16x32_fp8_fp8 v[80:83], a[184:185], a[40:41], v[80:83]// 00000000BE30: D3F30050 1D4251B8
	buffer_load_dword v47, s[20:23], 0 offen lds               // 00000000BE38: E0511000 8005002F
	s_add_u32 m0, 0x500, s48                                   // 00000000BE40: 807C30FF 00000500
	v_mfma_f32_16x16x32_fp8_fp8 v[80:83], a[186:187], a[42:43], v[80:83]// 00000000BE48: D3F30050 1D4255BA
	v_mfma_f32_16x16x32_fp8_fp8 v[80:83], a[188:189], a[44:45], v[80:83]// 00000000BE50: D3F30050 1D4259BC
	buffer_load_dword v48, s[20:23], 0 offen lds               // 00000000BE58: E0511000 80050030
	s_add_u32 m0, 0, s49                                       // 00000000BE60: 807C3180
	v_mfma_f32_16x16x32_fp8_fp8 v[80:83], a[190:191], a[46:47], v[80:83]// 00000000BE64: D3F30050 1D425DBE
	v_mfma_f32_16x16x32_fp8_fp8 v[92:95], a[192:193], a[40:41], v[92:95]// 00000000BE6C: D3F3005C 1D7251C0
	v_mfma_f32_16x16x32_fp8_fp8 v[92:95], a[194:195], a[42:43], v[92:95]// 00000000BE74: D3F3005C 1D7255C2
	v_mfma_f32_16x16x32_fp8_fp8 v[92:95], a[196:197], a[44:45], v[92:95]// 00000000BE7C: D3F3005C 1D7259C4
	v_mfma_f32_16x16x32_fp8_fp8 v[92:95], a[198:199], a[46:47], v[92:95]// 00000000BE84: D3F3005C 1D725DC6
	v_mfma_f32_16x16x32_fp8_fp8 v[104:107], a[200:201], a[40:41], v[104:107]// 00000000BE8C: D3F30068 1DA251C8
	v_mfma_f32_16x16x32_fp8_fp8 v[104:107], a[202:203], a[42:43], v[104:107]// 00000000BE94: D3F30068 1DA255CA
	v_mfma_f32_16x16x32_fp8_fp8 v[104:107], a[204:205], a[44:45], v[104:107]// 00000000BE9C: D3F30068 1DA259CC
	v_mfma_f32_16x16x32_fp8_fp8 v[104:107], a[206:207], a[46:47], v[104:107]// 00000000BEA4: D3F30068 1DA25DCE
	v_mfma_f32_16x16x32_fp8_fp8 v[116:119], a[208:209], a[40:41], v[116:119]// 00000000BEAC: D3F30074 1DD251D0
	v_mfma_f32_16x16x32_fp8_fp8 v[116:119], a[210:211], a[42:43], v[116:119]// 00000000BEB4: D3F30074 1DD255D2
	v_mfma_f32_16x16x32_fp8_fp8 v[116:119], a[212:213], a[44:45], v[116:119]// 00000000BEBC: D3F30074 1DD259D4
	v_mfma_f32_16x16x32_fp8_fp8 v[116:119], a[214:215], a[46:47], v[116:119]// 00000000BEC4: D3F30074 1DD25DD6
	v_mfma_f32_16x16x32_fp8_fp8 v[128:131], a[216:217], a[40:41], v[128:131]// 00000000BECC: D3F30080 1E0251D8
	v_mfma_f32_16x16x32_fp8_fp8 v[128:131], a[218:219], a[42:43], v[128:131]// 00000000BED4: D3F30080 1E0255DA
	v_mfma_f32_16x16x32_fp8_fp8 v[128:131], a[220:221], a[44:45], v[128:131]// 00000000BEDC: D3F30080 1E0259DC
	v_mfma_f32_16x16x32_fp8_fp8 v[128:131], a[222:223], a[46:47], v[128:131]// 00000000BEE4: D3F30080 1E025DDE
	v_mfma_f32_16x16x32_fp8_fp8 v[140:143], a[224:225], a[40:41], v[140:143]// 00000000BEEC: D3F3008C 1E3251E0
	v_mfma_f32_16x16x32_fp8_fp8 v[140:143], a[226:227], a[42:43], v[140:143]// 00000000BEF4: D3F3008C 1E3255E2
	v_mfma_f32_16x16x32_fp8_fp8 v[140:143], a[228:229], a[44:45], v[140:143]// 00000000BEFC: D3F3008C 1E3259E4
	v_mfma_f32_16x16x32_fp8_fp8 v[140:143], a[230:231], a[46:47], v[140:143]// 00000000BF04: D3F3008C 1E325DE6
	v_mfma_f32_16x16x32_fp8_fp8 v[152:155], a[232:233], a[40:41], v[152:155]// 00000000BF0C: D3F30098 1E6251E8
	v_mfma_f32_16x16x32_fp8_fp8 v[152:155], a[234:235], a[42:43], v[152:155]// 00000000BF14: D3F30098 1E6255EA
	v_mfma_f32_16x16x32_fp8_fp8 v[152:155], a[236:237], a[44:45], v[152:155]// 00000000BF1C: D3F30098 1E6259EC
	v_mfma_f32_16x16x32_fp8_fp8 v[152:155], a[238:239], a[46:47], v[152:155]// 00000000BF24: D3F30098 1E625DEE
	s_waitcnt vmcnt(22)                                        // 00000000BF2C: BF8C4F76
	s_barrier                                                  // 00000000BF30: BF8A0000
	v_mfma_f32_16x16x32_fp8_fp8 v[156:159], a[48:49], a[24:25], v[156:159]// 00000000BF34: D3F3009C 1E723130
	buffer_load_dwordx4 a[176:179], v49, s[84:87], 0 offen     // 00000000BF3C: E05C1000 8095B031
	v_mfma_f32_16x16x32_fp8_fp8 v[156:159], a[50:51], a[26:27], v[156:159]// 00000000BF44: D3F3009C 1E723532
	v_mfma_f32_16x16x32_fp8_fp8 v[156:159], a[52:53], a[28:29], v[156:159]// 00000000BF4C: D3F3009C 1E723934
	ds_read_b128 a[0:3], v2 offset:12544                       // 00000000BF54: DBFE3100 00000002
	ds_read_b128 a[4:7], v2 offset:12608                       // 00000000BF5C: DBFE3140 04000002
	v_mfma_f32_16x16x32_fp8_fp8 v[156:159], a[54:55], a[30:31], v[156:159]// 00000000BF64: D3F3009C 1E723D36
	v_mfma_f32_16x16x32_fp8_fp8 v[168:171], a[56:57], a[24:25], v[168:171]// 00000000BF6C: D3F300A8 1EA23138
	buffer_load_dwordx4 a[180:183], v49, s[84:87], 0 offen offset:1024// 00000000BF74: E05C1400 8095B431
	v_mfma_f32_16x16x32_fp8_fp8 v[168:171], a[58:59], a[26:27], v[168:171]// 00000000BF7C: D3F300A8 1EA2353A
	v_mfma_f32_16x16x32_fp8_fp8 v[168:171], a[60:61], a[28:29], v[168:171]// 00000000BF84: D3F300A8 1EA2393C
	ds_read_b128 a[8:11], v2 offset:13056                      // 00000000BF8C: DBFE3300 08000002
	ds_read_b128 a[12:15], v2 offset:13120                     // 00000000BF94: DBFE3340 0C000002
	v_mfma_f32_16x16x32_fp8_fp8 v[168:171], a[62:63], a[30:31], v[168:171]// 00000000BF9C: D3F300A8 1EA23D3E
	v_mfma_f32_16x16x32_fp8_fp8 v[180:183], a[64:65], a[24:25], v[180:183]// 00000000BFA4: D3F300B4 1ED23140
	buffer_load_dwordx4 a[184:187], v50, s[84:87], 0 offen     // 00000000BFAC: E05C1000 8095B832
	v_mfma_f32_16x16x32_fp8_fp8 v[180:183], a[66:67], a[26:27], v[180:183]// 00000000BFB4: D3F300B4 1ED23542
	v_mfma_f32_16x16x32_fp8_fp8 v[180:183], a[68:69], a[28:29], v[180:183]// 00000000BFBC: D3F300B4 1ED23944
	ds_read_b128 a[16:19], v2 offset:13568                     // 00000000BFC4: DBFE3500 10000002
	ds_read_b128 a[20:23], v2 offset:13632                     // 00000000BFCC: DBFE3540 14000002
	v_mfma_f32_16x16x32_fp8_fp8 v[180:183], a[70:71], a[30:31], v[180:183]// 00000000BFD4: D3F300B4 1ED23D46
	v_mfma_f32_16x16x32_fp8_fp8 v[192:195], a[72:73], a[24:25], v[192:195]// 00000000BFDC: D3F300C0 1F023148
	buffer_load_dwordx4 a[188:191], v50, s[84:87], 0 offen offset:1024// 00000000BFE4: E05C1400 8095BC32
	v_mfma_f32_16x16x32_fp8_fp8 v[192:195], a[74:75], a[26:27], v[192:195]// 00000000BFEC: D3F300C0 1F02354A
	v_mfma_f32_16x16x32_fp8_fp8 v[192:195], a[76:77], a[28:29], v[192:195]// 00000000BFF4: D3F300C0 1F02394C
	v_mfma_f32_16x16x32_fp8_fp8 v[192:195], a[78:79], a[30:31], v[192:195]// 00000000BFFC: D3F300C0 1F023D4E
	v_mfma_f32_16x16x32_fp8_fp8 v[204:207], a[80:81], a[24:25], v[204:207]// 00000000C004: D3F300CC 1F323150
	buffer_load_dwordx4 a[192:195], v51, s[84:87], 0 offen     // 00000000C00C: E05C1000 8095C033
	v_mfma_f32_16x16x32_fp8_fp8 v[204:207], a[82:83], a[26:27], v[204:207]// 00000000C014: D3F300CC 1F323552
	v_mfma_f32_16x16x32_fp8_fp8 v[204:207], a[84:85], a[28:29], v[204:207]// 00000000C01C: D3F300CC 1F323954
	v_mfma_f32_16x16x32_fp8_fp8 v[204:207], a[86:87], a[30:31], v[204:207]// 00000000C024: D3F300CC 1F323D56
	v_mfma_f32_16x16x32_fp8_fp8 v[216:219], a[88:89], a[24:25], v[216:219]// 00000000C02C: D3F300D8 1F623158
	buffer_load_dwordx4 a[196:199], v51, s[84:87], 0 offen offset:1024// 00000000C034: E05C1400 8095C433
	v_mfma_f32_16x16x32_fp8_fp8 v[216:219], a[90:91], a[26:27], v[216:219]// 00000000C03C: D3F300D8 1F62355A
	v_mfma_f32_16x16x32_fp8_fp8 v[216:219], a[92:93], a[28:29], v[216:219]// 00000000C044: D3F300D8 1F62395C
	v_mfma_f32_16x16x32_fp8_fp8 v[216:219], a[94:95], a[30:31], v[216:219]// 00000000C04C: D3F300D8 1F623D5E
	v_mfma_f32_16x16x32_fp8_fp8 v[228:231], a[96:97], a[24:25], v[228:231]// 00000000C054: D3F300E4 1F923160
	buffer_load_dwordx4 a[200:203], v52, s[84:87], 0 offen     // 00000000C05C: E05C1000 8095C834
	v_mfma_f32_16x16x32_fp8_fp8 v[228:231], a[98:99], a[26:27], v[228:231]// 00000000C064: D3F300E4 1F923562
	v_mfma_f32_16x16x32_fp8_fp8 v[228:231], a[100:101], a[28:29], v[228:231]// 00000000C06C: D3F300E4 1F923964
	v_mfma_f32_16x16x32_fp8_fp8 v[228:231], a[102:103], a[30:31], v[228:231]// 00000000C074: D3F300E4 1F923D66
	v_mfma_f32_16x16x32_fp8_fp8 v[240:243], a[104:105], a[24:25], v[240:243]// 00000000C07C: D3F300F0 1FC23168
	buffer_load_dwordx4 a[204:207], v52, s[84:87], 0 offen offset:1024// 00000000C084: E05C1400 8095CC34
	v_mfma_f32_16x16x32_fp8_fp8 v[240:243], a[106:107], a[26:27], v[240:243]// 00000000C08C: D3F300F0 1FC2356A
	v_mfma_f32_16x16x32_fp8_fp8 v[240:243], a[108:109], a[28:29], v[240:243]// 00000000C094: D3F300F0 1FC2396C
	v_mfma_f32_16x16x32_fp8_fp8 v[240:243], a[110:111], a[30:31], v[240:243]// 00000000C09C: D3F300F0 1FC23D6E
	v_mfma_f32_16x16x32_fp8_fp8 v[160:163], a[48:49], a[32:33], v[160:163]// 00000000C0A4: D3F300A0 1E824130
	buffer_load_dwordx4 a[208:211], v53, s[84:87], 0 offen     // 00000000C0AC: E05C1000 8095D035
	v_mfma_f32_16x16x32_fp8_fp8 v[160:163], a[50:51], a[34:35], v[160:163]// 00000000C0B4: D3F300A0 1E824532
	v_mfma_f32_16x16x32_fp8_fp8 v[160:163], a[52:53], a[36:37], v[160:163]// 00000000C0BC: D3F300A0 1E824934
	v_mfma_f32_16x16x32_fp8_fp8 v[160:163], a[54:55], a[38:39], v[160:163]// 00000000C0C4: D3F300A0 1E824D36
	v_mfma_f32_16x16x32_fp8_fp8 v[172:175], a[56:57], a[32:33], v[172:175]// 00000000C0CC: D3F300AC 1EB24138
	buffer_load_dwordx4 a[212:215], v53, s[84:87], 0 offen offset:1024// 00000000C0D4: E05C1400 8095D435
	v_mfma_f32_16x16x32_fp8_fp8 v[172:175], a[58:59], a[34:35], v[172:175]// 00000000C0DC: D3F300AC 1EB2453A
	v_mfma_f32_16x16x32_fp8_fp8 v[172:175], a[60:61], a[36:37], v[172:175]// 00000000C0E4: D3F300AC 1EB2493C
	v_mfma_f32_16x16x32_fp8_fp8 v[172:175], a[62:63], a[38:39], v[172:175]// 00000000C0EC: D3F300AC 1EB24D3E
	v_mfma_f32_16x16x32_fp8_fp8 v[184:187], a[64:65], a[32:33], v[184:187]// 00000000C0F4: D3F300B8 1EE24140
	buffer_load_dwordx4 a[216:219], v54, s[84:87], 0 offen     // 00000000C0FC: E05C1000 8095D836
	v_mfma_f32_16x16x32_fp8_fp8 v[184:187], a[66:67], a[34:35], v[184:187]// 00000000C104: D3F300B8 1EE24542
	v_mfma_f32_16x16x32_fp8_fp8 v[184:187], a[68:69], a[36:37], v[184:187]// 00000000C10C: D3F300B8 1EE24944
	v_mfma_f32_16x16x32_fp8_fp8 v[184:187], a[70:71], a[38:39], v[184:187]// 00000000C114: D3F300B8 1EE24D46
	v_mfma_f32_16x16x32_fp8_fp8 v[196:199], a[72:73], a[32:33], v[196:199]// 00000000C11C: D3F300C4 1F124148
	buffer_load_dwordx4 a[220:223], v54, s[84:87], 0 offen offset:1024// 00000000C124: E05C1400 8095DC36
	v_mfma_f32_16x16x32_fp8_fp8 v[196:199], a[74:75], a[34:35], v[196:199]// 00000000C12C: D3F300C4 1F12454A
	v_mfma_f32_16x16x32_fp8_fp8 v[196:199], a[76:77], a[36:37], v[196:199]// 00000000C134: D3F300C4 1F12494C
	v_mfma_f32_16x16x32_fp8_fp8 v[196:199], a[78:79], a[38:39], v[196:199]// 00000000C13C: D3F300C4 1F124D4E
	v_mfma_f32_16x16x32_fp8_fp8 v[208:211], a[80:81], a[32:33], v[208:211]// 00000000C144: D3F300D0 1F424150
	buffer_load_dwordx4 a[224:227], v55, s[84:87], 0 offen     // 00000000C14C: E05C1000 8095E037
	v_mfma_f32_16x16x32_fp8_fp8 v[208:211], a[82:83], a[34:35], v[208:211]// 00000000C154: D3F300D0 1F424552
	v_mfma_f32_16x16x32_fp8_fp8 v[208:211], a[84:85], a[36:37], v[208:211]// 00000000C15C: D3F300D0 1F424954
	v_mfma_f32_16x16x32_fp8_fp8 v[208:211], a[86:87], a[38:39], v[208:211]// 00000000C164: D3F300D0 1F424D56
	v_mfma_f32_16x16x32_fp8_fp8 v[220:223], a[88:89], a[32:33], v[220:223]// 00000000C16C: D3F300DC 1F724158
	buffer_load_dwordx4 a[228:231], v55, s[84:87], 0 offen offset:1024// 00000000C174: E05C1400 8095E437
	v_mfma_f32_16x16x32_fp8_fp8 v[220:223], a[90:91], a[34:35], v[220:223]// 00000000C17C: D3F300DC 1F72455A
	v_mfma_f32_16x16x32_fp8_fp8 v[220:223], a[92:93], a[36:37], v[220:223]// 00000000C184: D3F300DC 1F72495C
	v_mfma_f32_16x16x32_fp8_fp8 v[220:223], a[94:95], a[38:39], v[220:223]// 00000000C18C: D3F300DC 1F724D5E
	v_mfma_f32_16x16x32_fp8_fp8 v[232:235], a[96:97], a[32:33], v[232:235]// 00000000C194: D3F300E8 1FA24160
	buffer_load_dwordx4 a[232:235], v56, s[84:87], 0 offen     // 00000000C19C: E05C1000 8095E838
	v_mfma_f32_16x16x32_fp8_fp8 v[232:235], a[98:99], a[34:35], v[232:235]// 00000000C1A4: D3F300E8 1FA24562
	v_mfma_f32_16x16x32_fp8_fp8 v[232:235], a[100:101], a[36:37], v[232:235]// 00000000C1AC: D3F300E8 1FA24964
	v_mfma_f32_16x16x32_fp8_fp8 v[232:235], a[102:103], a[38:39], v[232:235]// 00000000C1B4: D3F300E8 1FA24D66
	v_mfma_f32_16x16x32_fp8_fp8 v[244:247], a[104:105], a[32:33], v[244:247]// 00000000C1BC: D3F300F4 1FD24168
	buffer_load_dwordx4 a[236:239], v56, s[84:87], 0 offen offset:1024// 00000000C1C4: E05C1400 8095EC38
	v_mfma_f32_16x16x32_fp8_fp8 v[244:247], a[106:107], a[34:35], v[244:247]// 00000000C1CC: D3F300F4 1FD2456A
	v_mfma_f32_16x16x32_fp8_fp8 v[244:247], a[108:109], a[36:37], v[244:247]// 00000000C1D4: D3F300F4 1FD2496C
	v_mfma_f32_16x16x32_fp8_fp8 v[244:247], a[110:111], a[38:39], v[244:247]// 00000000C1DC: D3F300F4 1FD24D6E
	v_mfma_f32_16x16x32_fp8_fp8 v[164:167], a[48:49], a[40:41], v[164:167]// 00000000C1E4: D3F300A4 1E925130
	v_mfma_f32_16x16x32_fp8_fp8 v[164:167], a[50:51], a[42:43], v[164:167]// 00000000C1EC: D3F300A4 1E925532
	v_mfma_f32_16x16x32_fp8_fp8 v[164:167], a[52:53], a[44:45], v[164:167]// 00000000C1F4: D3F300A4 1E925934
	v_mfma_f32_16x16x32_fp8_fp8 v[164:167], a[54:55], a[46:47], v[164:167]// 00000000C1FC: D3F300A4 1E925D36
	v_mfma_f32_16x16x32_fp8_fp8 v[176:179], a[56:57], a[40:41], v[176:179]// 00000000C204: D3F300B0 1EC25138
	v_mfma_f32_16x16x32_fp8_fp8 v[176:179], a[58:59], a[42:43], v[176:179]// 00000000C20C: D3F300B0 1EC2553A
	v_mfma_f32_16x16x32_fp8_fp8 v[176:179], a[60:61], a[44:45], v[176:179]// 00000000C214: D3F300B0 1EC2593C
	v_mfma_f32_16x16x32_fp8_fp8 v[176:179], a[62:63], a[46:47], v[176:179]// 00000000C21C: D3F300B0 1EC25D3E
	v_mfma_f32_16x16x32_fp8_fp8 v[188:191], a[64:65], a[40:41], v[188:191]// 00000000C224: D3F300BC 1EF25140
	v_mfma_f32_16x16x32_fp8_fp8 v[188:191], a[66:67], a[42:43], v[188:191]// 00000000C22C: D3F300BC 1EF25542
	v_mfma_f32_16x16x32_fp8_fp8 v[188:191], a[68:69], a[44:45], v[188:191]// 00000000C234: D3F300BC 1EF25944
	v_mfma_f32_16x16x32_fp8_fp8 v[188:191], a[70:71], a[46:47], v[188:191]// 00000000C23C: D3F300BC 1EF25D46
	v_mfma_f32_16x16x32_fp8_fp8 v[200:203], a[72:73], a[40:41], v[200:203]// 00000000C244: D3F300C8 1F225148
	v_mfma_f32_16x16x32_fp8_fp8 v[200:203], a[74:75], a[42:43], v[200:203]// 00000000C24C: D3F300C8 1F22554A
	v_mfma_f32_16x16x32_fp8_fp8 v[200:203], a[76:77], a[44:45], v[200:203]// 00000000C254: D3F300C8 1F22594C
	v_mfma_f32_16x16x32_fp8_fp8 v[200:203], a[78:79], a[46:47], v[200:203]// 00000000C25C: D3F300C8 1F225D4E
	v_mfma_f32_16x16x32_fp8_fp8 v[212:215], a[80:81], a[40:41], v[212:215]// 00000000C264: D3F300D4 1F525150
	v_mfma_f32_16x16x32_fp8_fp8 v[212:215], a[82:83], a[42:43], v[212:215]// 00000000C26C: D3F300D4 1F525552
	v_mfma_f32_16x16x32_fp8_fp8 v[212:215], a[84:85], a[44:45], v[212:215]// 00000000C274: D3F300D4 1F525954
	v_mfma_f32_16x16x32_fp8_fp8 v[212:215], a[86:87], a[46:47], v[212:215]// 00000000C27C: D3F300D4 1F525D56
	v_mfma_f32_16x16x32_fp8_fp8 v[224:227], a[88:89], a[40:41], v[224:227]// 00000000C284: D3F300E0 1F825158
	v_mfma_f32_16x16x32_fp8_fp8 v[224:227], a[90:91], a[42:43], v[224:227]// 00000000C28C: D3F300E0 1F82555A
	v_mfma_f32_16x16x32_fp8_fp8 v[224:227], a[92:93], a[44:45], v[224:227]// 00000000C294: D3F300E0 1F82595C
	v_mfma_f32_16x16x32_fp8_fp8 v[224:227], a[94:95], a[46:47], v[224:227]// 00000000C29C: D3F300E0 1F825D5E
	v_mfma_f32_16x16x32_fp8_fp8 v[236:239], a[96:97], a[40:41], v[236:239]// 00000000C2A4: D3F300EC 1FB25160
	s_add_u32 s60, 0x180, s80                                  // 00000000C2AC: 803C50FF 00000180
	s_cmp_lt_u32 s60, s81                                      // 00000000C2B4: BF0A513C
	s_cselect_b32 s57, s57, 0                                  // 00000000C2B8: 85398039
	v_mfma_f32_16x16x32_fp8_fp8 v[236:239], a[98:99], a[42:43], v[236:239]// 00000000C2BC: D3F300EC 1FB25562
	s_add_u32 s60, 0x100, s80                                  // 00000000C2C4: 803C50FF 00000100
	s_cmp_lt_u32 s60, s81                                      // 00000000C2CC: BF0A513C
	s_cselect_b32 s58, s58, 0                                  // 00000000C2D0: 853A803A
	v_mfma_f32_16x16x32_fp8_fp8 v[236:239], a[100:101], a[44:45], v[236:239]// 00000000C2D4: D3F300EC 1FB25964
	s_add_u32 s60, 0x100, s80                                  // 00000000C2DC: 803C50FF 00000100
	s_cmp_lt_u32 s60, s81                                      // 00000000C2E4: BF0A513C
	s_cselect_b32 s83, s83, 0                                  // 00000000C2E8: 85538053
	v_mfma_f32_16x16x32_fp8_fp8 v[236:239], a[102:103], a[46:47], v[236:239]// 00000000C2EC: D3F300EC 1FB25D66
	s_add_u32 s24, s58, s24                                    // 00000000C2F4: 8018183A
	s_addc_u32 s25, 0, s25                                     // 00000000C2F8: 82191980
	v_mfma_f32_16x16x32_fp8_fp8 v[248:251], a[104:105], a[40:41], v[248:251]// 00000000C2FC: D3F300F8 1FE25168
	s_add_u32 s20, s57, s20                                    // 00000000C304: 80141439
	s_addc_u32 s21, 0, s21                                     // 00000000C308: 82151580
	v_mfma_f32_16x16x32_fp8_fp8 v[248:251], a[106:107], a[42:43], v[248:251]// 00000000C30C: D3F300F8 1FE2556A
	s_add_u32 s84, s83, s84                                    // 00000000C314: 80545453
	s_addc_u32 s85, 0, s85                                     // 00000000C318: 82555580
	v_mfma_f32_16x16x32_fp8_fp8 v[248:251], a[108:109], a[44:45], v[248:251]// 00000000C31C: D3F300F8 1FE2596C
	v_mfma_f32_16x16x32_fp8_fp8 v[248:251], a[110:111], a[46:47], v[248:251]// 00000000C324: D3F300F8 1FE25D6E
	s_addk_i32 s80, 0x80                                       // 00000000C32C: B7500080
	s_cmp_lt_i32 s80, s81                                      // 00000000C330: BF045150
	s_cbranch_scc0 label_2E3E                                  // 00000000C334: BF8407ED
	s_waitcnt vmcnt(22) lgkmcnt(0)                             // 00000000C338: BF8C4076
	v_mfma_f32_16x16x32_fp8_fp8 v[60:63], a[112:113], a[0:1], v[60:63]// 00000000C33C: D3F3003C 1CF20170
	buffer_load_dwordx4 a[48:51], v49, s[24:27], 0 offen       // 00000000C344: E05C1000 80863031
	v_mfma_f32_16x16x32_fp8_fp8 v[60:63], a[114:115], a[2:3], v[60:63]// 00000000C34C: D3F3003C 1CF20572
	v_mfma_f32_16x16x32_fp8_fp8 v[60:63], a[116:117], a[4:5], v[60:63]// 00000000C354: D3F3003C 1CF20974
	v_mfma_f32_16x16x32_fp8_fp8 v[60:63], a[118:119], a[6:7], v[60:63]// 00000000C35C: D3F3003C 1CF20D76
	v_mfma_f32_16x16x32_fp8_fp8 v[72:75], a[120:121], a[0:1], v[72:75]// 00000000C364: D3F30048 1D220178
	buffer_load_dwordx4 a[52:55], v49, s[24:27], 0 offen offset:1024// 00000000C36C: E05C1400 80863431
	v_mfma_f32_16x16x32_fp8_fp8 v[72:75], a[122:123], a[2:3], v[72:75]// 00000000C374: D3F30048 1D22057A
	v_mfma_f32_16x16x32_fp8_fp8 v[72:75], a[124:125], a[4:5], v[72:75]// 00000000C37C: D3F30048 1D22097C
	v_mfma_f32_16x16x32_fp8_fp8 v[72:75], a[126:127], a[6:7], v[72:75]// 00000000C384: D3F30048 1D220D7E
	v_mfma_f32_16x16x32_fp8_fp8 v[84:87], a[128:129], a[0:1], v[84:87]// 00000000C38C: D3F30054 1D520180
	buffer_load_dwordx4 a[56:59], v50, s[24:27], 0 offen       // 00000000C394: E05C1000 80863832
	v_mfma_f32_16x16x32_fp8_fp8 v[84:87], a[130:131], a[2:3], v[84:87]// 00000000C39C: D3F30054 1D520582
	v_mfma_f32_16x16x32_fp8_fp8 v[84:87], a[132:133], a[4:5], v[84:87]// 00000000C3A4: D3F30054 1D520984
	v_mfma_f32_16x16x32_fp8_fp8 v[84:87], a[134:135], a[6:7], v[84:87]// 00000000C3AC: D3F30054 1D520D86
	v_mfma_f32_16x16x32_fp8_fp8 v[96:99], a[136:137], a[0:1], v[96:99]// 00000000C3B4: D3F30060 1D820188
	buffer_load_dwordx4 a[60:63], v50, s[24:27], 0 offen offset:1024// 00000000C3BC: E05C1400 80863C32
	v_mfma_f32_16x16x32_fp8_fp8 v[96:99], a[138:139], a[2:3], v[96:99]// 00000000C3C4: D3F30060 1D82058A
	v_mfma_f32_16x16x32_fp8_fp8 v[96:99], a[140:141], a[4:5], v[96:99]// 00000000C3CC: D3F30060 1D82098C
	v_mfma_f32_16x16x32_fp8_fp8 v[96:99], a[142:143], a[6:7], v[96:99]// 00000000C3D4: D3F30060 1D820D8E
	v_mfma_f32_16x16x32_fp8_fp8 v[108:111], a[144:145], a[0:1], v[108:111]// 00000000C3DC: D3F3006C 1DB20190
	buffer_load_dwordx4 a[64:67], v51, s[24:27], 0 offen       // 00000000C3E4: E05C1000 80864033
	v_mfma_f32_16x16x32_fp8_fp8 v[108:111], a[146:147], a[2:3], v[108:111]// 00000000C3EC: D3F3006C 1DB20592
	v_mfma_f32_16x16x32_fp8_fp8 v[108:111], a[148:149], a[4:5], v[108:111]// 00000000C3F4: D3F3006C 1DB20994
	v_mfma_f32_16x16x32_fp8_fp8 v[108:111], a[150:151], a[6:7], v[108:111]// 00000000C3FC: D3F3006C 1DB20D96
	v_mfma_f32_16x16x32_fp8_fp8 v[120:123], a[152:153], a[0:1], v[120:123]// 00000000C404: D3F30078 1DE20198
	buffer_load_dwordx4 a[68:71], v51, s[24:27], 0 offen offset:1024// 00000000C40C: E05C1400 80864433
	v_mfma_f32_16x16x32_fp8_fp8 v[120:123], a[154:155], a[2:3], v[120:123]// 00000000C414: D3F30078 1DE2059A
	v_mfma_f32_16x16x32_fp8_fp8 v[120:123], a[156:157], a[4:5], v[120:123]// 00000000C41C: D3F30078 1DE2099C
	v_mfma_f32_16x16x32_fp8_fp8 v[120:123], a[158:159], a[6:7], v[120:123]// 00000000C424: D3F30078 1DE20D9E
	v_mfma_f32_16x16x32_fp8_fp8 v[132:135], a[160:161], a[0:1], v[132:135]// 00000000C42C: D3F30084 1E1201A0
	buffer_load_dwordx4 a[72:75], v52, s[24:27], 0 offen       // 00000000C434: E05C1000 80864834
	v_mfma_f32_16x16x32_fp8_fp8 v[132:135], a[162:163], a[2:3], v[132:135]// 00000000C43C: D3F30084 1E1205A2
	v_mfma_f32_16x16x32_fp8_fp8 v[132:135], a[164:165], a[4:5], v[132:135]// 00000000C444: D3F30084 1E1209A4
	v_mfma_f32_16x16x32_fp8_fp8 v[132:135], a[166:167], a[6:7], v[132:135]// 00000000C44C: D3F30084 1E120DA6
	v_mfma_f32_16x16x32_fp8_fp8 v[144:147], a[168:169], a[0:1], v[144:147]// 00000000C454: D3F30090 1E4201A8
	buffer_load_dwordx4 a[76:79], v52, s[24:27], 0 offen offset:1024// 00000000C45C: E05C1400 80864C34
	v_mfma_f32_16x16x32_fp8_fp8 v[144:147], a[170:171], a[2:3], v[144:147]// 00000000C464: D3F30090 1E4205AA
	v_mfma_f32_16x16x32_fp8_fp8 v[144:147], a[172:173], a[4:5], v[144:147]// 00000000C46C: D3F30090 1E4209AC
	v_mfma_f32_16x16x32_fp8_fp8 v[144:147], a[174:175], a[6:7], v[144:147]// 00000000C474: D3F30090 1E420DAE
	v_mfma_f32_16x16x32_fp8_fp8 v[64:67], a[112:113], a[8:9], v[64:67]// 00000000C47C: D3F30040 1D021170
	buffer_load_dwordx4 a[80:83], v53, s[24:27], 0 offen       // 00000000C484: E05C1000 80865035
	v_mfma_f32_16x16x32_fp8_fp8 v[64:67], a[114:115], a[10:11], v[64:67]// 00000000C48C: D3F30040 1D021572
	v_mfma_f32_16x16x32_fp8_fp8 v[64:67], a[116:117], a[12:13], v[64:67]// 00000000C494: D3F30040 1D021974
	v_mfma_f32_16x16x32_fp8_fp8 v[64:67], a[118:119], a[14:15], v[64:67]// 00000000C49C: D3F30040 1D021D76
	v_mfma_f32_16x16x32_fp8_fp8 v[76:79], a[120:121], a[8:9], v[76:79]// 00000000C4A4: D3F3004C 1D321178
	buffer_load_dwordx4 a[84:87], v53, s[24:27], 0 offen offset:1024// 00000000C4AC: E05C1400 80865435
	v_mfma_f32_16x16x32_fp8_fp8 v[76:79], a[122:123], a[10:11], v[76:79]// 00000000C4B4: D3F3004C 1D32157A
	v_mfma_f32_16x16x32_fp8_fp8 v[76:79], a[124:125], a[12:13], v[76:79]// 00000000C4BC: D3F3004C 1D32197C
	v_mfma_f32_16x16x32_fp8_fp8 v[76:79], a[126:127], a[14:15], v[76:79]// 00000000C4C4: D3F3004C 1D321D7E
	v_mfma_f32_16x16x32_fp8_fp8 v[88:91], a[128:129], a[8:9], v[88:91]// 00000000C4CC: D3F30058 1D621180
	buffer_load_dwordx4 a[88:91], v54, s[24:27], 0 offen       // 00000000C4D4: E05C1000 80865836
	v_mfma_f32_16x16x32_fp8_fp8 v[88:91], a[130:131], a[10:11], v[88:91]// 00000000C4DC: D3F30058 1D621582
	v_mfma_f32_16x16x32_fp8_fp8 v[88:91], a[132:133], a[12:13], v[88:91]// 00000000C4E4: D3F30058 1D621984
	v_mfma_f32_16x16x32_fp8_fp8 v[88:91], a[134:135], a[14:15], v[88:91]// 00000000C4EC: D3F30058 1D621D86
	v_mfma_f32_16x16x32_fp8_fp8 v[100:103], a[136:137], a[8:9], v[100:103]// 00000000C4F4: D3F30064 1D921188
	buffer_load_dwordx4 a[92:95], v54, s[24:27], 0 offen offset:1024// 00000000C4FC: E05C1400 80865C36
	v_mfma_f32_16x16x32_fp8_fp8 v[100:103], a[138:139], a[10:11], v[100:103]// 00000000C504: D3F30064 1D92158A
	v_mfma_f32_16x16x32_fp8_fp8 v[100:103], a[140:141], a[12:13], v[100:103]// 00000000C50C: D3F30064 1D92198C
	v_mfma_f32_16x16x32_fp8_fp8 v[100:103], a[142:143], a[14:15], v[100:103]// 00000000C514: D3F30064 1D921D8E
	v_mfma_f32_16x16x32_fp8_fp8 v[112:115], a[144:145], a[8:9], v[112:115]// 00000000C51C: D3F30070 1DC21190
	buffer_load_dwordx4 a[96:99], v55, s[24:27], 0 offen       // 00000000C524: E05C1000 80866037
	v_mfma_f32_16x16x32_fp8_fp8 v[112:115], a[146:147], a[10:11], v[112:115]// 00000000C52C: D3F30070 1DC21592
	v_mfma_f32_16x16x32_fp8_fp8 v[112:115], a[148:149], a[12:13], v[112:115]// 00000000C534: D3F30070 1DC21994
	v_mfma_f32_16x16x32_fp8_fp8 v[112:115], a[150:151], a[14:15], v[112:115]// 00000000C53C: D3F30070 1DC21D96
	v_mfma_f32_16x16x32_fp8_fp8 v[124:127], a[152:153], a[8:9], v[124:127]// 00000000C544: D3F3007C 1DF21198
	buffer_load_dwordx4 a[100:103], v55, s[24:27], 0 offen offset:1024// 00000000C54C: E05C1400 80866437
	v_mfma_f32_16x16x32_fp8_fp8 v[124:127], a[154:155], a[10:11], v[124:127]// 00000000C554: D3F3007C 1DF2159A
	v_mfma_f32_16x16x32_fp8_fp8 v[124:127], a[156:157], a[12:13], v[124:127]// 00000000C55C: D3F3007C 1DF2199C
	v_mfma_f32_16x16x32_fp8_fp8 v[124:127], a[158:159], a[14:15], v[124:127]// 00000000C564: D3F3007C 1DF21D9E
	v_mfma_f32_16x16x32_fp8_fp8 v[136:139], a[160:161], a[8:9], v[136:139]// 00000000C56C: D3F30088 1E2211A0
	buffer_load_dwordx4 a[104:107], v56, s[24:27], 0 offen     // 00000000C574: E05C1000 80866838
	v_mfma_f32_16x16x32_fp8_fp8 v[136:139], a[162:163], a[10:11], v[136:139]// 00000000C57C: D3F30088 1E2215A2
	v_mfma_f32_16x16x32_fp8_fp8 v[136:139], a[164:165], a[12:13], v[136:139]// 00000000C584: D3F30088 1E2219A4
	v_mfma_f32_16x16x32_fp8_fp8 v[136:139], a[166:167], a[14:15], v[136:139]// 00000000C58C: D3F30088 1E221DA6
	v_mfma_f32_16x16x32_fp8_fp8 v[148:151], a[168:169], a[8:9], v[148:151]// 00000000C594: D3F30094 1E5211A8
	buffer_load_dwordx4 a[108:111], v56, s[24:27], 0 offen offset:1024// 00000000C59C: E05C1400 80866C38
	buffer_load_dword v43, s[20:23], 0 offen lds               // 00000000C5A4: E0511000 8005002B
	s_add_u32 m0, 0x100, s49                                   // 00000000C5AC: 807C31FF 00000100
	v_mfma_f32_16x16x32_fp8_fp8 v[148:151], a[170:171], a[10:11], v[148:151]// 00000000C5B4: D3F30094 1E5215AA
	v_mfma_f32_16x16x32_fp8_fp8 v[148:151], a[172:173], a[12:13], v[148:151]// 00000000C5BC: D3F30094 1E5219AC
	buffer_load_dword v44, s[20:23], 0 offen lds               // 00000000C5C4: E0511000 8005002C
	s_add_u32 m0, 0x200, s49                                   // 00000000C5CC: 807C31FF 00000200
	v_mfma_f32_16x16x32_fp8_fp8 v[148:151], a[174:175], a[14:15], v[148:151]// 00000000C5D4: D3F30094 1E521DAE
	v_mfma_f32_16x16x32_fp8_fp8 v[68:71], a[112:113], a[16:17], v[68:71]// 00000000C5DC: D3F30044 1D122170
	buffer_load_dword v45, s[20:23], 0 offen lds               // 00000000C5E4: E0511000 8005002D
	s_add_u32 m0, 0x300, s49                                   // 00000000C5EC: 807C31FF 00000300
	v_mfma_f32_16x16x32_fp8_fp8 v[68:71], a[114:115], a[18:19], v[68:71]// 00000000C5F4: D3F30044 1D122572
	v_mfma_f32_16x16x32_fp8_fp8 v[68:71], a[116:117], a[20:21], v[68:71]// 00000000C5FC: D3F30044 1D122974
	buffer_load_dword v46, s[20:23], 0 offen lds               // 00000000C604: E0511000 8005002E
	s_add_u32 m0, 0x400, s49                                   // 00000000C60C: 807C31FF 00000400
	v_mfma_f32_16x16x32_fp8_fp8 v[68:71], a[118:119], a[22:23], v[68:71]// 00000000C614: D3F30044 1D122D76
	v_mfma_f32_16x16x32_fp8_fp8 v[80:83], a[120:121], a[16:17], v[80:83]// 00000000C61C: D3F30050 1D422178
	buffer_load_dword v47, s[20:23], 0 offen lds               // 00000000C624: E0511000 8005002F
	s_add_u32 m0, 0x500, s49                                   // 00000000C62C: 807C31FF 00000500
	v_mfma_f32_16x16x32_fp8_fp8 v[80:83], a[122:123], a[18:19], v[80:83]// 00000000C634: D3F30050 1D42257A
	v_mfma_f32_16x16x32_fp8_fp8 v[80:83], a[124:125], a[20:21], v[80:83]// 00000000C63C: D3F30050 1D42297C
	buffer_load_dword v48, s[20:23], 0 offen lds               // 00000000C644: E0511000 80050030
	s_add_u32 m0, 0, s50                                       // 00000000C64C: 807C3280
	v_mfma_f32_16x16x32_fp8_fp8 v[80:83], a[126:127], a[22:23], v[80:83]// 00000000C650: D3F30050 1D422D7E
	v_mfma_f32_16x16x32_fp8_fp8 v[92:95], a[128:129], a[16:17], v[92:95]// 00000000C658: D3F3005C 1D722180
	v_mfma_f32_16x16x32_fp8_fp8 v[92:95], a[130:131], a[18:19], v[92:95]// 00000000C660: D3F3005C 1D722582
	v_mfma_f32_16x16x32_fp8_fp8 v[92:95], a[132:133], a[20:21], v[92:95]// 00000000C668: D3F3005C 1D722984
	v_mfma_f32_16x16x32_fp8_fp8 v[92:95], a[134:135], a[22:23], v[92:95]// 00000000C670: D3F3005C 1D722D86
	v_mfma_f32_16x16x32_fp8_fp8 v[104:107], a[136:137], a[16:17], v[104:107]// 00000000C678: D3F30068 1DA22188
	v_mfma_f32_16x16x32_fp8_fp8 v[104:107], a[138:139], a[18:19], v[104:107]// 00000000C680: D3F30068 1DA2258A
	v_mfma_f32_16x16x32_fp8_fp8 v[104:107], a[140:141], a[20:21], v[104:107]// 00000000C688: D3F30068 1DA2298C
	v_mfma_f32_16x16x32_fp8_fp8 v[104:107], a[142:143], a[22:23], v[104:107]// 00000000C690: D3F30068 1DA22D8E
	v_mfma_f32_16x16x32_fp8_fp8 v[116:119], a[144:145], a[16:17], v[116:119]// 00000000C698: D3F30074 1DD22190
	v_mfma_f32_16x16x32_fp8_fp8 v[116:119], a[146:147], a[18:19], v[116:119]// 00000000C6A0: D3F30074 1DD22592
	v_mfma_f32_16x16x32_fp8_fp8 v[116:119], a[148:149], a[20:21], v[116:119]// 00000000C6A8: D3F30074 1DD22994
	v_mfma_f32_16x16x32_fp8_fp8 v[116:119], a[150:151], a[22:23], v[116:119]// 00000000C6B0: D3F30074 1DD22D96
	v_mfma_f32_16x16x32_fp8_fp8 v[128:131], a[152:153], a[16:17], v[128:131]// 00000000C6B8: D3F30080 1E022198
	v_mfma_f32_16x16x32_fp8_fp8 v[128:131], a[154:155], a[18:19], v[128:131]// 00000000C6C0: D3F30080 1E02259A
	v_mfma_f32_16x16x32_fp8_fp8 v[128:131], a[156:157], a[20:21], v[128:131]// 00000000C6C8: D3F30080 1E02299C
	v_mfma_f32_16x16x32_fp8_fp8 v[128:131], a[158:159], a[22:23], v[128:131]// 00000000C6D0: D3F30080 1E022D9E
	v_mfma_f32_16x16x32_fp8_fp8 v[140:143], a[160:161], a[16:17], v[140:143]// 00000000C6D8: D3F3008C 1E3221A0
	v_mfma_f32_16x16x32_fp8_fp8 v[140:143], a[162:163], a[18:19], v[140:143]// 00000000C6E0: D3F3008C 1E3225A2
	v_mfma_f32_16x16x32_fp8_fp8 v[140:143], a[164:165], a[20:21], v[140:143]// 00000000C6E8: D3F3008C 1E3229A4
	v_mfma_f32_16x16x32_fp8_fp8 v[140:143], a[166:167], a[22:23], v[140:143]// 00000000C6F0: D3F3008C 1E322DA6
	v_mfma_f32_16x16x32_fp8_fp8 v[152:155], a[168:169], a[16:17], v[152:155]// 00000000C6F8: D3F30098 1E6221A8
	v_mfma_f32_16x16x32_fp8_fp8 v[152:155], a[170:171], a[18:19], v[152:155]// 00000000C700: D3F30098 1E6225AA
	v_mfma_f32_16x16x32_fp8_fp8 v[152:155], a[172:173], a[20:21], v[152:155]// 00000000C708: D3F30098 1E6229AC
	v_mfma_f32_16x16x32_fp8_fp8 v[152:155], a[174:175], a[22:23], v[152:155]// 00000000C710: D3F30098 1E622DAE
	s_waitcnt vmcnt(22)                                        // 00000000C718: BF8C4F76
	s_barrier                                                  // 00000000C71C: BF8A0000
	v_mfma_f32_16x16x32_fp8_fp8 v[156:159], a[176:177], a[0:1], v[156:159]// 00000000C720: D3F3009C 1E7201B0
	buffer_load_dwordx4 a[112:115], v49, s[84:87], 0 offen     // 00000000C728: E05C1000 80957031
	v_mfma_f32_16x16x32_fp8_fp8 v[156:159], a[178:179], a[2:3], v[156:159]// 00000000C730: D3F3009C 1E7205B2
	v_mfma_f32_16x16x32_fp8_fp8 v[156:159], a[180:181], a[4:5], v[156:159]// 00000000C738: D3F3009C 1E7209B4
	ds_read_b128 a[24:27], v2                                  // 00000000C740: DBFE0000 18000002
	ds_read_b128 a[28:31], v2 offset:64                        // 00000000C748: DBFE0040 1C000002
	v_mfma_f32_16x16x32_fp8_fp8 v[156:159], a[182:183], a[6:7], v[156:159]// 00000000C750: D3F3009C 1E720DB6
	v_mfma_f32_16x16x32_fp8_fp8 v[168:171], a[184:185], a[0:1], v[168:171]// 00000000C758: D3F300A8 1EA201B8
	buffer_load_dwordx4 a[116:119], v49, s[84:87], 0 offen offset:1024// 00000000C760: E05C1400 80957431
	v_mfma_f32_16x16x32_fp8_fp8 v[168:171], a[186:187], a[2:3], v[168:171]// 00000000C768: D3F300A8 1EA205BA
	v_mfma_f32_16x16x32_fp8_fp8 v[168:171], a[188:189], a[4:5], v[168:171]// 00000000C770: D3F300A8 1EA209BC
	ds_read_b128 a[32:35], v2 offset:512                       // 00000000C778: DBFE0200 20000002
	ds_read_b128 a[36:39], v2 offset:576                       // 00000000C780: DBFE0240 24000002
	v_mfma_f32_16x16x32_fp8_fp8 v[168:171], a[190:191], a[6:7], v[168:171]// 00000000C788: D3F300A8 1EA20DBE
	v_mfma_f32_16x16x32_fp8_fp8 v[180:183], a[192:193], a[0:1], v[180:183]// 00000000C790: D3F300B4 1ED201C0
	buffer_load_dwordx4 a[120:123], v50, s[84:87], 0 offen     // 00000000C798: E05C1000 80957832
	v_mfma_f32_16x16x32_fp8_fp8 v[180:183], a[194:195], a[2:3], v[180:183]// 00000000C7A0: D3F300B4 1ED205C2
	v_mfma_f32_16x16x32_fp8_fp8 v[180:183], a[196:197], a[4:5], v[180:183]// 00000000C7A8: D3F300B4 1ED209C4
	ds_read_b128 a[40:43], v2 offset:1024                      // 00000000C7B0: DBFE0400 28000002
	ds_read_b128 a[44:47], v2 offset:1088                      // 00000000C7B8: DBFE0440 2C000002
	v_mfma_f32_16x16x32_fp8_fp8 v[180:183], a[198:199], a[6:7], v[180:183]// 00000000C7C0: D3F300B4 1ED20DC6
	v_mfma_f32_16x16x32_fp8_fp8 v[192:195], a[200:201], a[0:1], v[192:195]// 00000000C7C8: D3F300C0 1F0201C8
	buffer_load_dwordx4 a[124:127], v50, s[84:87], 0 offen offset:1024// 00000000C7D0: E05C1400 80957C32
	v_mfma_f32_16x16x32_fp8_fp8 v[192:195], a[202:203], a[2:3], v[192:195]// 00000000C7D8: D3F300C0 1F0205CA
	v_mfma_f32_16x16x32_fp8_fp8 v[192:195], a[204:205], a[4:5], v[192:195]// 00000000C7E0: D3F300C0 1F0209CC
	v_mfma_f32_16x16x32_fp8_fp8 v[192:195], a[206:207], a[6:7], v[192:195]// 00000000C7E8: D3F300C0 1F020DCE
	v_mfma_f32_16x16x32_fp8_fp8 v[204:207], a[208:209], a[0:1], v[204:207]// 00000000C7F0: D3F300CC 1F3201D0
	buffer_load_dwordx4 a[128:131], v51, s[84:87], 0 offen     // 00000000C7F8: E05C1000 80958033
	v_mfma_f32_16x16x32_fp8_fp8 v[204:207], a[210:211], a[2:3], v[204:207]// 00000000C800: D3F300CC 1F3205D2
	v_mfma_f32_16x16x32_fp8_fp8 v[204:207], a[212:213], a[4:5], v[204:207]// 00000000C808: D3F300CC 1F3209D4
	v_mfma_f32_16x16x32_fp8_fp8 v[204:207], a[214:215], a[6:7], v[204:207]// 00000000C810: D3F300CC 1F320DD6
	v_mfma_f32_16x16x32_fp8_fp8 v[216:219], a[216:217], a[0:1], v[216:219]// 00000000C818: D3F300D8 1F6201D8
	buffer_load_dwordx4 a[132:135], v51, s[84:87], 0 offen offset:1024// 00000000C820: E05C1400 80958433
	v_mfma_f32_16x16x32_fp8_fp8 v[216:219], a[218:219], a[2:3], v[216:219]// 00000000C828: D3F300D8 1F6205DA
	v_mfma_f32_16x16x32_fp8_fp8 v[216:219], a[220:221], a[4:5], v[216:219]// 00000000C830: D3F300D8 1F6209DC
	v_mfma_f32_16x16x32_fp8_fp8 v[216:219], a[222:223], a[6:7], v[216:219]// 00000000C838: D3F300D8 1F620DDE
	v_mfma_f32_16x16x32_fp8_fp8 v[228:231], a[224:225], a[0:1], v[228:231]// 00000000C840: D3F300E4 1F9201E0
	buffer_load_dwordx4 a[136:139], v52, s[84:87], 0 offen     // 00000000C848: E05C1000 80958834
	v_mfma_f32_16x16x32_fp8_fp8 v[228:231], a[226:227], a[2:3], v[228:231]// 00000000C850: D3F300E4 1F9205E2
	v_mfma_f32_16x16x32_fp8_fp8 v[228:231], a[228:229], a[4:5], v[228:231]// 00000000C858: D3F300E4 1F9209E4
	v_mfma_f32_16x16x32_fp8_fp8 v[228:231], a[230:231], a[6:7], v[228:231]// 00000000C860: D3F300E4 1F920DE6
	v_mfma_f32_16x16x32_fp8_fp8 v[240:243], a[232:233], a[0:1], v[240:243]// 00000000C868: D3F300F0 1FC201E8
	buffer_load_dwordx4 a[140:143], v52, s[84:87], 0 offen offset:1024// 00000000C870: E05C1400 80958C34
	v_mfma_f32_16x16x32_fp8_fp8 v[240:243], a[234:235], a[2:3], v[240:243]// 00000000C878: D3F300F0 1FC205EA
	v_mfma_f32_16x16x32_fp8_fp8 v[240:243], a[236:237], a[4:5], v[240:243]// 00000000C880: D3F300F0 1FC209EC
	v_mfma_f32_16x16x32_fp8_fp8 v[240:243], a[238:239], a[6:7], v[240:243]// 00000000C888: D3F300F0 1FC20DEE
	v_mfma_f32_16x16x32_fp8_fp8 v[160:163], a[176:177], a[8:9], v[160:163]// 00000000C890: D3F300A0 1E8211B0
	buffer_load_dwordx4 a[144:147], v53, s[84:87], 0 offen     // 00000000C898: E05C1000 80959035
	v_mfma_f32_16x16x32_fp8_fp8 v[160:163], a[178:179], a[10:11], v[160:163]// 00000000C8A0: D3F300A0 1E8215B2
	v_mfma_f32_16x16x32_fp8_fp8 v[160:163], a[180:181], a[12:13], v[160:163]// 00000000C8A8: D3F300A0 1E8219B4
	v_mfma_f32_16x16x32_fp8_fp8 v[160:163], a[182:183], a[14:15], v[160:163]// 00000000C8B0: D3F300A0 1E821DB6
	v_mfma_f32_16x16x32_fp8_fp8 v[172:175], a[184:185], a[8:9], v[172:175]// 00000000C8B8: D3F300AC 1EB211B8
	buffer_load_dwordx4 a[148:151], v53, s[84:87], 0 offen offset:1024// 00000000C8C0: E05C1400 80959435
	v_mfma_f32_16x16x32_fp8_fp8 v[172:175], a[186:187], a[10:11], v[172:175]// 00000000C8C8: D3F300AC 1EB215BA
	v_mfma_f32_16x16x32_fp8_fp8 v[172:175], a[188:189], a[12:13], v[172:175]// 00000000C8D0: D3F300AC 1EB219BC
	v_mfma_f32_16x16x32_fp8_fp8 v[172:175], a[190:191], a[14:15], v[172:175]// 00000000C8D8: D3F300AC 1EB21DBE
	v_mfma_f32_16x16x32_fp8_fp8 v[184:187], a[192:193], a[8:9], v[184:187]// 00000000C8E0: D3F300B8 1EE211C0
	buffer_load_dwordx4 a[152:155], v54, s[84:87], 0 offen     // 00000000C8E8: E05C1000 80959836
	v_mfma_f32_16x16x32_fp8_fp8 v[184:187], a[194:195], a[10:11], v[184:187]// 00000000C8F0: D3F300B8 1EE215C2
	v_mfma_f32_16x16x32_fp8_fp8 v[184:187], a[196:197], a[12:13], v[184:187]// 00000000C8F8: D3F300B8 1EE219C4
	v_mfma_f32_16x16x32_fp8_fp8 v[184:187], a[198:199], a[14:15], v[184:187]// 00000000C900: D3F300B8 1EE21DC6
	v_mfma_f32_16x16x32_fp8_fp8 v[196:199], a[200:201], a[8:9], v[196:199]// 00000000C908: D3F300C4 1F1211C8
	buffer_load_dwordx4 a[156:159], v54, s[84:87], 0 offen offset:1024// 00000000C910: E05C1400 80959C36
	v_mfma_f32_16x16x32_fp8_fp8 v[196:199], a[202:203], a[10:11], v[196:199]// 00000000C918: D3F300C4 1F1215CA
	v_mfma_f32_16x16x32_fp8_fp8 v[196:199], a[204:205], a[12:13], v[196:199]// 00000000C920: D3F300C4 1F1219CC
	v_mfma_f32_16x16x32_fp8_fp8 v[196:199], a[206:207], a[14:15], v[196:199]// 00000000C928: D3F300C4 1F121DCE
	v_mfma_f32_16x16x32_fp8_fp8 v[208:211], a[208:209], a[8:9], v[208:211]// 00000000C930: D3F300D0 1F4211D0
	buffer_load_dwordx4 a[160:163], v55, s[84:87], 0 offen     // 00000000C938: E05C1000 8095A037
	v_mfma_f32_16x16x32_fp8_fp8 v[208:211], a[210:211], a[10:11], v[208:211]// 00000000C940: D3F300D0 1F4215D2
	v_mfma_f32_16x16x32_fp8_fp8 v[208:211], a[212:213], a[12:13], v[208:211]// 00000000C948: D3F300D0 1F4219D4
	v_mfma_f32_16x16x32_fp8_fp8 v[208:211], a[214:215], a[14:15], v[208:211]// 00000000C950: D3F300D0 1F421DD6
	v_mfma_f32_16x16x32_fp8_fp8 v[220:223], a[216:217], a[8:9], v[220:223]// 00000000C958: D3F300DC 1F7211D8
	buffer_load_dwordx4 a[164:167], v55, s[84:87], 0 offen offset:1024// 00000000C960: E05C1400 8095A437
	v_mfma_f32_16x16x32_fp8_fp8 v[220:223], a[218:219], a[10:11], v[220:223]// 00000000C968: D3F300DC 1F7215DA
	v_mfma_f32_16x16x32_fp8_fp8 v[220:223], a[220:221], a[12:13], v[220:223]// 00000000C970: D3F300DC 1F7219DC
	v_mfma_f32_16x16x32_fp8_fp8 v[220:223], a[222:223], a[14:15], v[220:223]// 00000000C978: D3F300DC 1F721DDE
	v_mfma_f32_16x16x32_fp8_fp8 v[232:235], a[224:225], a[8:9], v[232:235]// 00000000C980: D3F300E8 1FA211E0
	buffer_load_dwordx4 a[168:171], v56, s[84:87], 0 offen     // 00000000C988: E05C1000 8095A838
	v_mfma_f32_16x16x32_fp8_fp8 v[232:235], a[226:227], a[10:11], v[232:235]// 00000000C990: D3F300E8 1FA215E2
	v_mfma_f32_16x16x32_fp8_fp8 v[232:235], a[228:229], a[12:13], v[232:235]// 00000000C998: D3F300E8 1FA219E4
	v_mfma_f32_16x16x32_fp8_fp8 v[232:235], a[230:231], a[14:15], v[232:235]// 00000000C9A0: D3F300E8 1FA21DE6
	v_mfma_f32_16x16x32_fp8_fp8 v[244:247], a[232:233], a[8:9], v[244:247]// 00000000C9A8: D3F300F4 1FD211E8
	buffer_load_dwordx4 a[172:175], v56, s[84:87], 0 offen offset:1024// 00000000C9B0: E05C1400 8095AC38
	v_mfma_f32_16x16x32_fp8_fp8 v[244:247], a[234:235], a[10:11], v[244:247]// 00000000C9B8: D3F300F4 1FD215EA
	v_mfma_f32_16x16x32_fp8_fp8 v[244:247], a[236:237], a[12:13], v[244:247]// 00000000C9C0: D3F300F4 1FD219EC
	v_mfma_f32_16x16x32_fp8_fp8 v[244:247], a[238:239], a[14:15], v[244:247]// 00000000C9C8: D3F300F4 1FD21DEE
	v_mfma_f32_16x16x32_fp8_fp8 v[164:167], a[176:177], a[16:17], v[164:167]// 00000000C9D0: D3F300A4 1E9221B0
	v_mfma_f32_16x16x32_fp8_fp8 v[164:167], a[178:179], a[18:19], v[164:167]// 00000000C9D8: D3F300A4 1E9225B2
	v_mfma_f32_16x16x32_fp8_fp8 v[164:167], a[180:181], a[20:21], v[164:167]// 00000000C9E0: D3F300A4 1E9229B4
	v_mfma_f32_16x16x32_fp8_fp8 v[164:167], a[182:183], a[22:23], v[164:167]// 00000000C9E8: D3F300A4 1E922DB6
	v_mfma_f32_16x16x32_fp8_fp8 v[176:179], a[184:185], a[16:17], v[176:179]// 00000000C9F0: D3F300B0 1EC221B8
	v_mfma_f32_16x16x32_fp8_fp8 v[176:179], a[186:187], a[18:19], v[176:179]// 00000000C9F8: D3F300B0 1EC225BA
	v_mfma_f32_16x16x32_fp8_fp8 v[176:179], a[188:189], a[20:21], v[176:179]// 00000000CA00: D3F300B0 1EC229BC
	v_mfma_f32_16x16x32_fp8_fp8 v[176:179], a[190:191], a[22:23], v[176:179]// 00000000CA08: D3F300B0 1EC22DBE
	v_mfma_f32_16x16x32_fp8_fp8 v[188:191], a[192:193], a[16:17], v[188:191]// 00000000CA10: D3F300BC 1EF221C0
	v_mfma_f32_16x16x32_fp8_fp8 v[188:191], a[194:195], a[18:19], v[188:191]// 00000000CA18: D3F300BC 1EF225C2
	v_mfma_f32_16x16x32_fp8_fp8 v[188:191], a[196:197], a[20:21], v[188:191]// 00000000CA20: D3F300BC 1EF229C4
	v_mfma_f32_16x16x32_fp8_fp8 v[188:191], a[198:199], a[22:23], v[188:191]// 00000000CA28: D3F300BC 1EF22DC6
	v_mfma_f32_16x16x32_fp8_fp8 v[200:203], a[200:201], a[16:17], v[200:203]// 00000000CA30: D3F300C8 1F2221C8
	v_mfma_f32_16x16x32_fp8_fp8 v[200:203], a[202:203], a[18:19], v[200:203]// 00000000CA38: D3F300C8 1F2225CA
	v_mfma_f32_16x16x32_fp8_fp8 v[200:203], a[204:205], a[20:21], v[200:203]// 00000000CA40: D3F300C8 1F2229CC
	v_mfma_f32_16x16x32_fp8_fp8 v[200:203], a[206:207], a[22:23], v[200:203]// 00000000CA48: D3F300C8 1F222DCE
	v_mfma_f32_16x16x32_fp8_fp8 v[212:215], a[208:209], a[16:17], v[212:215]// 00000000CA50: D3F300D4 1F5221D0
	v_mfma_f32_16x16x32_fp8_fp8 v[212:215], a[210:211], a[18:19], v[212:215]// 00000000CA58: D3F300D4 1F5225D2
	v_mfma_f32_16x16x32_fp8_fp8 v[212:215], a[212:213], a[20:21], v[212:215]// 00000000CA60: D3F300D4 1F5229D4
	v_mfma_f32_16x16x32_fp8_fp8 v[212:215], a[214:215], a[22:23], v[212:215]// 00000000CA68: D3F300D4 1F522DD6
	v_mfma_f32_16x16x32_fp8_fp8 v[224:227], a[216:217], a[16:17], v[224:227]// 00000000CA70: D3F300E0 1F8221D8
	v_mfma_f32_16x16x32_fp8_fp8 v[224:227], a[218:219], a[18:19], v[224:227]// 00000000CA78: D3F300E0 1F8225DA
	v_mfma_f32_16x16x32_fp8_fp8 v[224:227], a[220:221], a[20:21], v[224:227]// 00000000CA80: D3F300E0 1F8229DC
	v_mfma_f32_16x16x32_fp8_fp8 v[224:227], a[222:223], a[22:23], v[224:227]// 00000000CA88: D3F300E0 1F822DDE
	v_mfma_f32_16x16x32_fp8_fp8 v[236:239], a[224:225], a[16:17], v[236:239]// 00000000CA90: D3F300EC 1FB221E0
	s_add_u32 s60, 0x180, s80                                  // 00000000CA98: 803C50FF 00000180
	s_cmp_lt_u32 s60, s81                                      // 00000000CAA0: BF0A513C
	s_cselect_b32 s57, s57, 0                                  // 00000000CAA4: 85398039
	v_mfma_f32_16x16x32_fp8_fp8 v[236:239], a[226:227], a[18:19], v[236:239]// 00000000CAA8: D3F300EC 1FB225E2
	s_add_u32 s60, 0x100, s80                                  // 00000000CAB0: 803C50FF 00000100
	s_cmp_lt_u32 s60, s81                                      // 00000000CAB8: BF0A513C
	s_cselect_b32 s58, s58, 0                                  // 00000000CABC: 853A803A
	v_mfma_f32_16x16x32_fp8_fp8 v[236:239], a[228:229], a[20:21], v[236:239]// 00000000CAC0: D3F300EC 1FB229E4
	s_add_u32 s60, 0x100, s80                                  // 00000000CAC8: 803C50FF 00000100
	s_cmp_lt_u32 s60, s81                                      // 00000000CAD0: BF0A513C
	s_cselect_b32 s83, s83, 0                                  // 00000000CAD4: 85538053
	v_mfma_f32_16x16x32_fp8_fp8 v[236:239], a[230:231], a[22:23], v[236:239]// 00000000CAD8: D3F300EC 1FB22DE6
	s_add_u32 s24, s58, s24                                    // 00000000CAE0: 8018183A
	s_addc_u32 s25, 0, s25                                     // 00000000CAE4: 82191980
	v_mfma_f32_16x16x32_fp8_fp8 v[248:251], a[232:233], a[16:17], v[248:251]// 00000000CAE8: D3F300F8 1FE221E8
	s_add_u32 s20, s57, s20                                    // 00000000CAF0: 80141439
	s_addc_u32 s21, 0, s21                                     // 00000000CAF4: 82151580
	v_mfma_f32_16x16x32_fp8_fp8 v[248:251], a[234:235], a[18:19], v[248:251]// 00000000CAF8: D3F300F8 1FE225EA
	s_add_u32 s84, s83, s84                                    // 00000000CB00: 80545453
	s_addc_u32 s85, 0, s85                                     // 00000000CB04: 82555580
	v_mfma_f32_16x16x32_fp8_fp8 v[248:251], a[236:237], a[20:21], v[248:251]// 00000000CB08: D3F300F8 1FE229EC
	v_mfma_f32_16x16x32_fp8_fp8 v[248:251], a[238:239], a[22:23], v[248:251]// 00000000CB10: D3F300F8 1FE22DEE
	s_addk_i32 s80, 0x80                                       // 00000000CB18: B7500080
	s_cmp_lt_i32 s80, s81                                      // 00000000CB1C: BF045150
	s_cbranch_scc0 label_2E3E                                  // 00000000CB20: BF8405F2
	s_waitcnt vmcnt(22) lgkmcnt(0)                             // 00000000CB24: BF8C4076
	v_mfma_f32_16x16x32_fp8_fp8 v[60:63], a[48:49], a[24:25], v[60:63]// 00000000CB28: D3F3003C 1CF23130
	buffer_load_dwordx4 a[176:179], v49, s[24:27], 0 offen     // 00000000CB30: E05C1000 8086B031
	v_mfma_f32_16x16x32_fp8_fp8 v[60:63], a[50:51], a[26:27], v[60:63]// 00000000CB38: D3F3003C 1CF23532
	v_mfma_f32_16x16x32_fp8_fp8 v[60:63], a[52:53], a[28:29], v[60:63]// 00000000CB40: D3F3003C 1CF23934
	v_mfma_f32_16x16x32_fp8_fp8 v[60:63], a[54:55], a[30:31], v[60:63]// 00000000CB48: D3F3003C 1CF23D36
	v_mfma_f32_16x16x32_fp8_fp8 v[72:75], a[56:57], a[24:25], v[72:75]// 00000000CB50: D3F30048 1D223138
	buffer_load_dwordx4 a[180:183], v49, s[24:27], 0 offen offset:1024// 00000000CB58: E05C1400 8086B431
	v_mfma_f32_16x16x32_fp8_fp8 v[72:75], a[58:59], a[26:27], v[72:75]// 00000000CB60: D3F30048 1D22353A
	v_mfma_f32_16x16x32_fp8_fp8 v[72:75], a[60:61], a[28:29], v[72:75]// 00000000CB68: D3F30048 1D22393C
	v_mfma_f32_16x16x32_fp8_fp8 v[72:75], a[62:63], a[30:31], v[72:75]// 00000000CB70: D3F30048 1D223D3E
	v_mfma_f32_16x16x32_fp8_fp8 v[84:87], a[64:65], a[24:25], v[84:87]// 00000000CB78: D3F30054 1D523140
	buffer_load_dwordx4 a[184:187], v50, s[24:27], 0 offen     // 00000000CB80: E05C1000 8086B832
	v_mfma_f32_16x16x32_fp8_fp8 v[84:87], a[66:67], a[26:27], v[84:87]// 00000000CB88: D3F30054 1D523542
	v_mfma_f32_16x16x32_fp8_fp8 v[84:87], a[68:69], a[28:29], v[84:87]// 00000000CB90: D3F30054 1D523944
	v_mfma_f32_16x16x32_fp8_fp8 v[84:87], a[70:71], a[30:31], v[84:87]// 00000000CB98: D3F30054 1D523D46
	v_mfma_f32_16x16x32_fp8_fp8 v[96:99], a[72:73], a[24:25], v[96:99]// 00000000CBA0: D3F30060 1D823148
	buffer_load_dwordx4 a[188:191], v50, s[24:27], 0 offen offset:1024// 00000000CBA8: E05C1400 8086BC32
	v_mfma_f32_16x16x32_fp8_fp8 v[96:99], a[74:75], a[26:27], v[96:99]// 00000000CBB0: D3F30060 1D82354A
	v_mfma_f32_16x16x32_fp8_fp8 v[96:99], a[76:77], a[28:29], v[96:99]// 00000000CBB8: D3F30060 1D82394C
	v_mfma_f32_16x16x32_fp8_fp8 v[96:99], a[78:79], a[30:31], v[96:99]// 00000000CBC0: D3F30060 1D823D4E
	v_mfma_f32_16x16x32_fp8_fp8 v[108:111], a[80:81], a[24:25], v[108:111]// 00000000CBC8: D3F3006C 1DB23150
	buffer_load_dwordx4 a[192:195], v51, s[24:27], 0 offen     // 00000000CBD0: E05C1000 8086C033
	v_mfma_f32_16x16x32_fp8_fp8 v[108:111], a[82:83], a[26:27], v[108:111]// 00000000CBD8: D3F3006C 1DB23552
	v_mfma_f32_16x16x32_fp8_fp8 v[108:111], a[84:85], a[28:29], v[108:111]// 00000000CBE0: D3F3006C 1DB23954
	v_mfma_f32_16x16x32_fp8_fp8 v[108:111], a[86:87], a[30:31], v[108:111]// 00000000CBE8: D3F3006C 1DB23D56
	v_mfma_f32_16x16x32_fp8_fp8 v[120:123], a[88:89], a[24:25], v[120:123]// 00000000CBF0: D3F30078 1DE23158
	buffer_load_dwordx4 a[196:199], v51, s[24:27], 0 offen offset:1024// 00000000CBF8: E05C1400 8086C433
	v_mfma_f32_16x16x32_fp8_fp8 v[120:123], a[90:91], a[26:27], v[120:123]// 00000000CC00: D3F30078 1DE2355A
	v_mfma_f32_16x16x32_fp8_fp8 v[120:123], a[92:93], a[28:29], v[120:123]// 00000000CC08: D3F30078 1DE2395C
	v_mfma_f32_16x16x32_fp8_fp8 v[120:123], a[94:95], a[30:31], v[120:123]// 00000000CC10: D3F30078 1DE23D5E
	v_mfma_f32_16x16x32_fp8_fp8 v[132:135], a[96:97], a[24:25], v[132:135]// 00000000CC18: D3F30084 1E123160
	buffer_load_dwordx4 a[200:203], v52, s[24:27], 0 offen     // 00000000CC20: E05C1000 8086C834
	v_mfma_f32_16x16x32_fp8_fp8 v[132:135], a[98:99], a[26:27], v[132:135]// 00000000CC28: D3F30084 1E123562
	v_mfma_f32_16x16x32_fp8_fp8 v[132:135], a[100:101], a[28:29], v[132:135]// 00000000CC30: D3F30084 1E123964
	v_mfma_f32_16x16x32_fp8_fp8 v[132:135], a[102:103], a[30:31], v[132:135]// 00000000CC38: D3F30084 1E123D66
	v_mfma_f32_16x16x32_fp8_fp8 v[144:147], a[104:105], a[24:25], v[144:147]// 00000000CC40: D3F30090 1E423168
	buffer_load_dwordx4 a[204:207], v52, s[24:27], 0 offen offset:1024// 00000000CC48: E05C1400 8086CC34
	v_mfma_f32_16x16x32_fp8_fp8 v[144:147], a[106:107], a[26:27], v[144:147]// 00000000CC50: D3F30090 1E42356A
	v_mfma_f32_16x16x32_fp8_fp8 v[144:147], a[108:109], a[28:29], v[144:147]// 00000000CC58: D3F30090 1E42396C
	v_mfma_f32_16x16x32_fp8_fp8 v[144:147], a[110:111], a[30:31], v[144:147]// 00000000CC60: D3F30090 1E423D6E
	v_mfma_f32_16x16x32_fp8_fp8 v[64:67], a[48:49], a[32:33], v[64:67]// 00000000CC68: D3F30040 1D024130
	buffer_load_dwordx4 a[208:211], v53, s[24:27], 0 offen     // 00000000CC70: E05C1000 8086D035
	v_mfma_f32_16x16x32_fp8_fp8 v[64:67], a[50:51], a[34:35], v[64:67]// 00000000CC78: D3F30040 1D024532
	v_mfma_f32_16x16x32_fp8_fp8 v[64:67], a[52:53], a[36:37], v[64:67]// 00000000CC80: D3F30040 1D024934
	v_mfma_f32_16x16x32_fp8_fp8 v[64:67], a[54:55], a[38:39], v[64:67]// 00000000CC88: D3F30040 1D024D36
	v_mfma_f32_16x16x32_fp8_fp8 v[76:79], a[56:57], a[32:33], v[76:79]// 00000000CC90: D3F3004C 1D324138
	buffer_load_dwordx4 a[212:215], v53, s[24:27], 0 offen offset:1024// 00000000CC98: E05C1400 8086D435
	v_mfma_f32_16x16x32_fp8_fp8 v[76:79], a[58:59], a[34:35], v[76:79]// 00000000CCA0: D3F3004C 1D32453A
	v_mfma_f32_16x16x32_fp8_fp8 v[76:79], a[60:61], a[36:37], v[76:79]// 00000000CCA8: D3F3004C 1D32493C
	v_mfma_f32_16x16x32_fp8_fp8 v[76:79], a[62:63], a[38:39], v[76:79]// 00000000CCB0: D3F3004C 1D324D3E
	v_mfma_f32_16x16x32_fp8_fp8 v[88:91], a[64:65], a[32:33], v[88:91]// 00000000CCB8: D3F30058 1D624140
	buffer_load_dwordx4 a[216:219], v54, s[24:27], 0 offen     // 00000000CCC0: E05C1000 8086D836
	v_mfma_f32_16x16x32_fp8_fp8 v[88:91], a[66:67], a[34:35], v[88:91]// 00000000CCC8: D3F30058 1D624542
	v_mfma_f32_16x16x32_fp8_fp8 v[88:91], a[68:69], a[36:37], v[88:91]// 00000000CCD0: D3F30058 1D624944
	v_mfma_f32_16x16x32_fp8_fp8 v[88:91], a[70:71], a[38:39], v[88:91]// 00000000CCD8: D3F30058 1D624D46
	v_mfma_f32_16x16x32_fp8_fp8 v[100:103], a[72:73], a[32:33], v[100:103]// 00000000CCE0: D3F30064 1D924148
	buffer_load_dwordx4 a[220:223], v54, s[24:27], 0 offen offset:1024// 00000000CCE8: E05C1400 8086DC36
	v_mfma_f32_16x16x32_fp8_fp8 v[100:103], a[74:75], a[34:35], v[100:103]// 00000000CCF0: D3F30064 1D92454A
	v_mfma_f32_16x16x32_fp8_fp8 v[100:103], a[76:77], a[36:37], v[100:103]// 00000000CCF8: D3F30064 1D92494C
	v_mfma_f32_16x16x32_fp8_fp8 v[100:103], a[78:79], a[38:39], v[100:103]// 00000000CD00: D3F30064 1D924D4E
	v_mfma_f32_16x16x32_fp8_fp8 v[112:115], a[80:81], a[32:33], v[112:115]// 00000000CD08: D3F30070 1DC24150
	buffer_load_dwordx4 a[224:227], v55, s[24:27], 0 offen     // 00000000CD10: E05C1000 8086E037
	v_mfma_f32_16x16x32_fp8_fp8 v[112:115], a[82:83], a[34:35], v[112:115]// 00000000CD18: D3F30070 1DC24552
	v_mfma_f32_16x16x32_fp8_fp8 v[112:115], a[84:85], a[36:37], v[112:115]// 00000000CD20: D3F30070 1DC24954
	v_mfma_f32_16x16x32_fp8_fp8 v[112:115], a[86:87], a[38:39], v[112:115]// 00000000CD28: D3F30070 1DC24D56
	v_mfma_f32_16x16x32_fp8_fp8 v[124:127], a[88:89], a[32:33], v[124:127]// 00000000CD30: D3F3007C 1DF24158
	buffer_load_dwordx4 a[228:231], v55, s[24:27], 0 offen offset:1024// 00000000CD38: E05C1400 8086E437
	v_mfma_f32_16x16x32_fp8_fp8 v[124:127], a[90:91], a[34:35], v[124:127]// 00000000CD40: D3F3007C 1DF2455A
	v_mfma_f32_16x16x32_fp8_fp8 v[124:127], a[92:93], a[36:37], v[124:127]// 00000000CD48: D3F3007C 1DF2495C
	v_mfma_f32_16x16x32_fp8_fp8 v[124:127], a[94:95], a[38:39], v[124:127]// 00000000CD50: D3F3007C 1DF24D5E
	v_mfma_f32_16x16x32_fp8_fp8 v[136:139], a[96:97], a[32:33], v[136:139]// 00000000CD58: D3F30088 1E224160
	buffer_load_dwordx4 a[232:235], v56, s[24:27], 0 offen     // 00000000CD60: E05C1000 8086E838
	v_mfma_f32_16x16x32_fp8_fp8 v[136:139], a[98:99], a[34:35], v[136:139]// 00000000CD68: D3F30088 1E224562
	v_mfma_f32_16x16x32_fp8_fp8 v[136:139], a[100:101], a[36:37], v[136:139]// 00000000CD70: D3F30088 1E224964
	v_mfma_f32_16x16x32_fp8_fp8 v[136:139], a[102:103], a[38:39], v[136:139]// 00000000CD78: D3F30088 1E224D66
	v_mfma_f32_16x16x32_fp8_fp8 v[148:151], a[104:105], a[32:33], v[148:151]// 00000000CD80: D3F30094 1E524168
	buffer_load_dwordx4 a[236:239], v56, s[24:27], 0 offen offset:1024// 00000000CD88: E05C1400 8086EC38
	buffer_load_dword v43, s[20:23], 0 offen lds               // 00000000CD90: E0511000 8005002B
	s_add_u32 m0, 0x100, s50                                   // 00000000CD98: 807C32FF 00000100
	v_mfma_f32_16x16x32_fp8_fp8 v[148:151], a[106:107], a[34:35], v[148:151]// 00000000CDA0: D3F30094 1E52456A
	v_mfma_f32_16x16x32_fp8_fp8 v[148:151], a[108:109], a[36:37], v[148:151]// 00000000CDA8: D3F30094 1E52496C
	buffer_load_dword v44, s[20:23], 0 offen lds               // 00000000CDB0: E0511000 8005002C
	s_add_u32 m0, 0x200, s50                                   // 00000000CDB8: 807C32FF 00000200
	v_mfma_f32_16x16x32_fp8_fp8 v[148:151], a[110:111], a[38:39], v[148:151]// 00000000CDC0: D3F30094 1E524D6E
	v_mfma_f32_16x16x32_fp8_fp8 v[68:71], a[48:49], a[40:41], v[68:71]// 00000000CDC8: D3F30044 1D125130
	buffer_load_dword v45, s[20:23], 0 offen lds               // 00000000CDD0: E0511000 8005002D
	s_add_u32 m0, 0x300, s50                                   // 00000000CDD8: 807C32FF 00000300
	v_mfma_f32_16x16x32_fp8_fp8 v[68:71], a[50:51], a[42:43], v[68:71]// 00000000CDE0: D3F30044 1D125532
	v_mfma_f32_16x16x32_fp8_fp8 v[68:71], a[52:53], a[44:45], v[68:71]// 00000000CDE8: D3F30044 1D125934
	buffer_load_dword v46, s[20:23], 0 offen lds               // 00000000CDF0: E0511000 8005002E
	s_add_u32 m0, 0x400, s50                                   // 00000000CDF8: 807C32FF 00000400
	v_mfma_f32_16x16x32_fp8_fp8 v[68:71], a[54:55], a[46:47], v[68:71]// 00000000CE00: D3F30044 1D125D36
	v_mfma_f32_16x16x32_fp8_fp8 v[80:83], a[56:57], a[40:41], v[80:83]// 00000000CE08: D3F30050 1D425138
	buffer_load_dword v47, s[20:23], 0 offen lds               // 00000000CE10: E0511000 8005002F
	s_add_u32 m0, 0x500, s50                                   // 00000000CE18: 807C32FF 00000500
	v_mfma_f32_16x16x32_fp8_fp8 v[80:83], a[58:59], a[42:43], v[80:83]// 00000000CE20: D3F30050 1D42553A
	v_mfma_f32_16x16x32_fp8_fp8 v[80:83], a[60:61], a[44:45], v[80:83]// 00000000CE28: D3F30050 1D42593C
	buffer_load_dword v48, s[20:23], 0 offen lds               // 00000000CE30: E0511000 80050030
	s_add_u32 m0, 0, s48                                       // 00000000CE38: 807C3080
	v_mfma_f32_16x16x32_fp8_fp8 v[80:83], a[62:63], a[46:47], v[80:83]// 00000000CE3C: D3F30050 1D425D3E
	v_mfma_f32_16x16x32_fp8_fp8 v[92:95], a[64:65], a[40:41], v[92:95]// 00000000CE44: D3F3005C 1D725140
	v_mfma_f32_16x16x32_fp8_fp8 v[92:95], a[66:67], a[42:43], v[92:95]// 00000000CE4C: D3F3005C 1D725542
	v_mfma_f32_16x16x32_fp8_fp8 v[92:95], a[68:69], a[44:45], v[92:95]// 00000000CE54: D3F3005C 1D725944
	v_mfma_f32_16x16x32_fp8_fp8 v[92:95], a[70:71], a[46:47], v[92:95]// 00000000CE5C: D3F3005C 1D725D46
	v_mfma_f32_16x16x32_fp8_fp8 v[104:107], a[72:73], a[40:41], v[104:107]// 00000000CE64: D3F30068 1DA25148
	v_mfma_f32_16x16x32_fp8_fp8 v[104:107], a[74:75], a[42:43], v[104:107]// 00000000CE6C: D3F30068 1DA2554A
	v_mfma_f32_16x16x32_fp8_fp8 v[104:107], a[76:77], a[44:45], v[104:107]// 00000000CE74: D3F30068 1DA2594C
	v_mfma_f32_16x16x32_fp8_fp8 v[104:107], a[78:79], a[46:47], v[104:107]// 00000000CE7C: D3F30068 1DA25D4E
	v_mfma_f32_16x16x32_fp8_fp8 v[116:119], a[80:81], a[40:41], v[116:119]// 00000000CE84: D3F30074 1DD25150
	v_mfma_f32_16x16x32_fp8_fp8 v[116:119], a[82:83], a[42:43], v[116:119]// 00000000CE8C: D3F30074 1DD25552
	v_mfma_f32_16x16x32_fp8_fp8 v[116:119], a[84:85], a[44:45], v[116:119]// 00000000CE94: D3F30074 1DD25954
	v_mfma_f32_16x16x32_fp8_fp8 v[116:119], a[86:87], a[46:47], v[116:119]// 00000000CE9C: D3F30074 1DD25D56
	v_mfma_f32_16x16x32_fp8_fp8 v[128:131], a[88:89], a[40:41], v[128:131]// 00000000CEA4: D3F30080 1E025158
	v_mfma_f32_16x16x32_fp8_fp8 v[128:131], a[90:91], a[42:43], v[128:131]// 00000000CEAC: D3F30080 1E02555A
	v_mfma_f32_16x16x32_fp8_fp8 v[128:131], a[92:93], a[44:45], v[128:131]// 00000000CEB4: D3F30080 1E02595C
	v_mfma_f32_16x16x32_fp8_fp8 v[128:131], a[94:95], a[46:47], v[128:131]// 00000000CEBC: D3F30080 1E025D5E
	v_mfma_f32_16x16x32_fp8_fp8 v[140:143], a[96:97], a[40:41], v[140:143]// 00000000CEC4: D3F3008C 1E325160
	v_mfma_f32_16x16x32_fp8_fp8 v[140:143], a[98:99], a[42:43], v[140:143]// 00000000CECC: D3F3008C 1E325562
	v_mfma_f32_16x16x32_fp8_fp8 v[140:143], a[100:101], a[44:45], v[140:143]// 00000000CED4: D3F3008C 1E325964
	v_mfma_f32_16x16x32_fp8_fp8 v[140:143], a[102:103], a[46:47], v[140:143]// 00000000CEDC: D3F3008C 1E325D66
	v_mfma_f32_16x16x32_fp8_fp8 v[152:155], a[104:105], a[40:41], v[152:155]// 00000000CEE4: D3F30098 1E625168
	v_mfma_f32_16x16x32_fp8_fp8 v[152:155], a[106:107], a[42:43], v[152:155]// 00000000CEEC: D3F30098 1E62556A
	v_mfma_f32_16x16x32_fp8_fp8 v[152:155], a[108:109], a[44:45], v[152:155]// 00000000CEF4: D3F30098 1E62596C
	v_mfma_f32_16x16x32_fp8_fp8 v[152:155], a[110:111], a[46:47], v[152:155]// 00000000CEFC: D3F30098 1E625D6E
	s_waitcnt vmcnt(22)                                        // 00000000CF04: BF8C4F76
	s_barrier                                                  // 00000000CF08: BF8A0000
	v_mfma_f32_16x16x32_fp8_fp8 v[156:159], a[112:113], a[24:25], v[156:159]// 00000000CF0C: D3F3009C 1E723170
	buffer_load_dwordx4 a[48:51], v49, s[84:87], 0 offen       // 00000000CF14: E05C1000 80953031
	v_mfma_f32_16x16x32_fp8_fp8 v[156:159], a[114:115], a[26:27], v[156:159]// 00000000CF1C: D3F3009C 1E723572
	v_mfma_f32_16x16x32_fp8_fp8 v[156:159], a[116:117], a[28:29], v[156:159]// 00000000CF24: D3F3009C 1E723974
	ds_read_b128 a[0:3], v2 offset:6272                        // 00000000CF2C: DBFE1880 00000002
	ds_read_b128 a[4:7], v2 offset:6336                        // 00000000CF34: DBFE18C0 04000002
	v_mfma_f32_16x16x32_fp8_fp8 v[156:159], a[118:119], a[30:31], v[156:159]// 00000000CF3C: D3F3009C 1E723D76
	v_mfma_f32_16x16x32_fp8_fp8 v[168:171], a[120:121], a[24:25], v[168:171]// 00000000CF44: D3F300A8 1EA23178
	buffer_load_dwordx4 a[52:55], v49, s[84:87], 0 offen offset:1024// 00000000CF4C: E05C1400 80953431
	v_mfma_f32_16x16x32_fp8_fp8 v[168:171], a[122:123], a[26:27], v[168:171]// 00000000CF54: D3F300A8 1EA2357A
	v_mfma_f32_16x16x32_fp8_fp8 v[168:171], a[124:125], a[28:29], v[168:171]// 00000000CF5C: D3F300A8 1EA2397C
	ds_read_b128 a[8:11], v2 offset:6784                       // 00000000CF64: DBFE1A80 08000002
	ds_read_b128 a[12:15], v2 offset:6848                      // 00000000CF6C: DBFE1AC0 0C000002
	v_mfma_f32_16x16x32_fp8_fp8 v[168:171], a[126:127], a[30:31], v[168:171]// 00000000CF74: D3F300A8 1EA23D7E
	v_mfma_f32_16x16x32_fp8_fp8 v[180:183], a[128:129], a[24:25], v[180:183]// 00000000CF7C: D3F300B4 1ED23180
	buffer_load_dwordx4 a[56:59], v50, s[84:87], 0 offen       // 00000000CF84: E05C1000 80953832
	v_mfma_f32_16x16x32_fp8_fp8 v[180:183], a[130:131], a[26:27], v[180:183]// 00000000CF8C: D3F300B4 1ED23582
	v_mfma_f32_16x16x32_fp8_fp8 v[180:183], a[132:133], a[28:29], v[180:183]// 00000000CF94: D3F300B4 1ED23984
	ds_read_b128 a[16:19], v2 offset:7296                      // 00000000CF9C: DBFE1C80 10000002
	ds_read_b128 a[20:23], v2 offset:7360                      // 00000000CFA4: DBFE1CC0 14000002
	v_mfma_f32_16x16x32_fp8_fp8 v[180:183], a[134:135], a[30:31], v[180:183]// 00000000CFAC: D3F300B4 1ED23D86
	v_mfma_f32_16x16x32_fp8_fp8 v[192:195], a[136:137], a[24:25], v[192:195]// 00000000CFB4: D3F300C0 1F023188
	buffer_load_dwordx4 a[60:63], v50, s[84:87], 0 offen offset:1024// 00000000CFBC: E05C1400 80953C32
	v_mfma_f32_16x16x32_fp8_fp8 v[192:195], a[138:139], a[26:27], v[192:195]// 00000000CFC4: D3F300C0 1F02358A
	v_mfma_f32_16x16x32_fp8_fp8 v[192:195], a[140:141], a[28:29], v[192:195]// 00000000CFCC: D3F300C0 1F02398C
	v_mfma_f32_16x16x32_fp8_fp8 v[192:195], a[142:143], a[30:31], v[192:195]// 00000000CFD4: D3F300C0 1F023D8E
	v_mfma_f32_16x16x32_fp8_fp8 v[204:207], a[144:145], a[24:25], v[204:207]// 00000000CFDC: D3F300CC 1F323190
	buffer_load_dwordx4 a[64:67], v51, s[84:87], 0 offen       // 00000000CFE4: E05C1000 80954033
	v_mfma_f32_16x16x32_fp8_fp8 v[204:207], a[146:147], a[26:27], v[204:207]// 00000000CFEC: D3F300CC 1F323592
	v_mfma_f32_16x16x32_fp8_fp8 v[204:207], a[148:149], a[28:29], v[204:207]// 00000000CFF4: D3F300CC 1F323994
	v_mfma_f32_16x16x32_fp8_fp8 v[204:207], a[150:151], a[30:31], v[204:207]// 00000000CFFC: D3F300CC 1F323D96
	v_mfma_f32_16x16x32_fp8_fp8 v[216:219], a[152:153], a[24:25], v[216:219]// 00000000D004: D3F300D8 1F623198
	buffer_load_dwordx4 a[68:71], v51, s[84:87], 0 offen offset:1024// 00000000D00C: E05C1400 80954433
	v_mfma_f32_16x16x32_fp8_fp8 v[216:219], a[154:155], a[26:27], v[216:219]// 00000000D014: D3F300D8 1F62359A
	v_mfma_f32_16x16x32_fp8_fp8 v[216:219], a[156:157], a[28:29], v[216:219]// 00000000D01C: D3F300D8 1F62399C
	v_mfma_f32_16x16x32_fp8_fp8 v[216:219], a[158:159], a[30:31], v[216:219]// 00000000D024: D3F300D8 1F623D9E
	v_mfma_f32_16x16x32_fp8_fp8 v[228:231], a[160:161], a[24:25], v[228:231]// 00000000D02C: D3F300E4 1F9231A0
	buffer_load_dwordx4 a[72:75], v52, s[84:87], 0 offen       // 00000000D034: E05C1000 80954834
	v_mfma_f32_16x16x32_fp8_fp8 v[228:231], a[162:163], a[26:27], v[228:231]// 00000000D03C: D3F300E4 1F9235A2
	v_mfma_f32_16x16x32_fp8_fp8 v[228:231], a[164:165], a[28:29], v[228:231]// 00000000D044: D3F300E4 1F9239A4
	v_mfma_f32_16x16x32_fp8_fp8 v[228:231], a[166:167], a[30:31], v[228:231]// 00000000D04C: D3F300E4 1F923DA6
	v_mfma_f32_16x16x32_fp8_fp8 v[240:243], a[168:169], a[24:25], v[240:243]// 00000000D054: D3F300F0 1FC231A8
	buffer_load_dwordx4 a[76:79], v52, s[84:87], 0 offen offset:1024// 00000000D05C: E05C1400 80954C34
	v_mfma_f32_16x16x32_fp8_fp8 v[240:243], a[170:171], a[26:27], v[240:243]// 00000000D064: D3F300F0 1FC235AA
	v_mfma_f32_16x16x32_fp8_fp8 v[240:243], a[172:173], a[28:29], v[240:243]// 00000000D06C: D3F300F0 1FC239AC
	v_mfma_f32_16x16x32_fp8_fp8 v[240:243], a[174:175], a[30:31], v[240:243]// 00000000D074: D3F300F0 1FC23DAE
	v_mfma_f32_16x16x32_fp8_fp8 v[160:163], a[112:113], a[32:33], v[160:163]// 00000000D07C: D3F300A0 1E824170
	buffer_load_dwordx4 a[80:83], v53, s[84:87], 0 offen       // 00000000D084: E05C1000 80955035
	v_mfma_f32_16x16x32_fp8_fp8 v[160:163], a[114:115], a[34:35], v[160:163]// 00000000D08C: D3F300A0 1E824572
	v_mfma_f32_16x16x32_fp8_fp8 v[160:163], a[116:117], a[36:37], v[160:163]// 00000000D094: D3F300A0 1E824974
	v_mfma_f32_16x16x32_fp8_fp8 v[160:163], a[118:119], a[38:39], v[160:163]// 00000000D09C: D3F300A0 1E824D76
	v_mfma_f32_16x16x32_fp8_fp8 v[172:175], a[120:121], a[32:33], v[172:175]// 00000000D0A4: D3F300AC 1EB24178
	buffer_load_dwordx4 a[84:87], v53, s[84:87], 0 offen offset:1024// 00000000D0AC: E05C1400 80955435
	v_mfma_f32_16x16x32_fp8_fp8 v[172:175], a[122:123], a[34:35], v[172:175]// 00000000D0B4: D3F300AC 1EB2457A
	v_mfma_f32_16x16x32_fp8_fp8 v[172:175], a[124:125], a[36:37], v[172:175]// 00000000D0BC: D3F300AC 1EB2497C
	v_mfma_f32_16x16x32_fp8_fp8 v[172:175], a[126:127], a[38:39], v[172:175]// 00000000D0C4: D3F300AC 1EB24D7E
	v_mfma_f32_16x16x32_fp8_fp8 v[184:187], a[128:129], a[32:33], v[184:187]// 00000000D0CC: D3F300B8 1EE24180
	buffer_load_dwordx4 a[88:91], v54, s[84:87], 0 offen       // 00000000D0D4: E05C1000 80955836
	v_mfma_f32_16x16x32_fp8_fp8 v[184:187], a[130:131], a[34:35], v[184:187]// 00000000D0DC: D3F300B8 1EE24582
	v_mfma_f32_16x16x32_fp8_fp8 v[184:187], a[132:133], a[36:37], v[184:187]// 00000000D0E4: D3F300B8 1EE24984
	v_mfma_f32_16x16x32_fp8_fp8 v[184:187], a[134:135], a[38:39], v[184:187]// 00000000D0EC: D3F300B8 1EE24D86
	v_mfma_f32_16x16x32_fp8_fp8 v[196:199], a[136:137], a[32:33], v[196:199]// 00000000D0F4: D3F300C4 1F124188
	buffer_load_dwordx4 a[92:95], v54, s[84:87], 0 offen offset:1024// 00000000D0FC: E05C1400 80955C36
	v_mfma_f32_16x16x32_fp8_fp8 v[196:199], a[138:139], a[34:35], v[196:199]// 00000000D104: D3F300C4 1F12458A
	v_mfma_f32_16x16x32_fp8_fp8 v[196:199], a[140:141], a[36:37], v[196:199]// 00000000D10C: D3F300C4 1F12498C
	v_mfma_f32_16x16x32_fp8_fp8 v[196:199], a[142:143], a[38:39], v[196:199]// 00000000D114: D3F300C4 1F124D8E
	v_mfma_f32_16x16x32_fp8_fp8 v[208:211], a[144:145], a[32:33], v[208:211]// 00000000D11C: D3F300D0 1F424190
	buffer_load_dwordx4 a[96:99], v55, s[84:87], 0 offen       // 00000000D124: E05C1000 80956037
	v_mfma_f32_16x16x32_fp8_fp8 v[208:211], a[146:147], a[34:35], v[208:211]// 00000000D12C: D3F300D0 1F424592
	v_mfma_f32_16x16x32_fp8_fp8 v[208:211], a[148:149], a[36:37], v[208:211]// 00000000D134: D3F300D0 1F424994
	v_mfma_f32_16x16x32_fp8_fp8 v[208:211], a[150:151], a[38:39], v[208:211]// 00000000D13C: D3F300D0 1F424D96
	v_mfma_f32_16x16x32_fp8_fp8 v[220:223], a[152:153], a[32:33], v[220:223]// 00000000D144: D3F300DC 1F724198
	buffer_load_dwordx4 a[100:103], v55, s[84:87], 0 offen offset:1024// 00000000D14C: E05C1400 80956437
	v_mfma_f32_16x16x32_fp8_fp8 v[220:223], a[154:155], a[34:35], v[220:223]// 00000000D154: D3F300DC 1F72459A
	v_mfma_f32_16x16x32_fp8_fp8 v[220:223], a[156:157], a[36:37], v[220:223]// 00000000D15C: D3F300DC 1F72499C
	v_mfma_f32_16x16x32_fp8_fp8 v[220:223], a[158:159], a[38:39], v[220:223]// 00000000D164: D3F300DC 1F724D9E
	v_mfma_f32_16x16x32_fp8_fp8 v[232:235], a[160:161], a[32:33], v[232:235]// 00000000D16C: D3F300E8 1FA241A0
	buffer_load_dwordx4 a[104:107], v56, s[84:87], 0 offen     // 00000000D174: E05C1000 80956838
	v_mfma_f32_16x16x32_fp8_fp8 v[232:235], a[162:163], a[34:35], v[232:235]// 00000000D17C: D3F300E8 1FA245A2
	v_mfma_f32_16x16x32_fp8_fp8 v[232:235], a[164:165], a[36:37], v[232:235]// 00000000D184: D3F300E8 1FA249A4
	v_mfma_f32_16x16x32_fp8_fp8 v[232:235], a[166:167], a[38:39], v[232:235]// 00000000D18C: D3F300E8 1FA24DA6
	v_mfma_f32_16x16x32_fp8_fp8 v[244:247], a[168:169], a[32:33], v[244:247]// 00000000D194: D3F300F4 1FD241A8
	buffer_load_dwordx4 a[108:111], v56, s[84:87], 0 offen offset:1024// 00000000D19C: E05C1400 80956C38
	v_mfma_f32_16x16x32_fp8_fp8 v[244:247], a[170:171], a[34:35], v[244:247]// 00000000D1A4: D3F300F4 1FD245AA
	v_mfma_f32_16x16x32_fp8_fp8 v[244:247], a[172:173], a[36:37], v[244:247]// 00000000D1AC: D3F300F4 1FD249AC
	v_mfma_f32_16x16x32_fp8_fp8 v[244:247], a[174:175], a[38:39], v[244:247]// 00000000D1B4: D3F300F4 1FD24DAE
	v_mfma_f32_16x16x32_fp8_fp8 v[164:167], a[112:113], a[40:41], v[164:167]// 00000000D1BC: D3F300A4 1E925170
	v_mfma_f32_16x16x32_fp8_fp8 v[164:167], a[114:115], a[42:43], v[164:167]// 00000000D1C4: D3F300A4 1E925572
	v_mfma_f32_16x16x32_fp8_fp8 v[164:167], a[116:117], a[44:45], v[164:167]// 00000000D1CC: D3F300A4 1E925974
	v_mfma_f32_16x16x32_fp8_fp8 v[164:167], a[118:119], a[46:47], v[164:167]// 00000000D1D4: D3F300A4 1E925D76
	v_mfma_f32_16x16x32_fp8_fp8 v[176:179], a[120:121], a[40:41], v[176:179]// 00000000D1DC: D3F300B0 1EC25178
	v_mfma_f32_16x16x32_fp8_fp8 v[176:179], a[122:123], a[42:43], v[176:179]// 00000000D1E4: D3F300B0 1EC2557A
	v_mfma_f32_16x16x32_fp8_fp8 v[176:179], a[124:125], a[44:45], v[176:179]// 00000000D1EC: D3F300B0 1EC2597C
	v_mfma_f32_16x16x32_fp8_fp8 v[176:179], a[126:127], a[46:47], v[176:179]// 00000000D1F4: D3F300B0 1EC25D7E
	v_mfma_f32_16x16x32_fp8_fp8 v[188:191], a[128:129], a[40:41], v[188:191]// 00000000D1FC: D3F300BC 1EF25180
	v_mfma_f32_16x16x32_fp8_fp8 v[188:191], a[130:131], a[42:43], v[188:191]// 00000000D204: D3F300BC 1EF25582
	v_mfma_f32_16x16x32_fp8_fp8 v[188:191], a[132:133], a[44:45], v[188:191]// 00000000D20C: D3F300BC 1EF25984
	v_mfma_f32_16x16x32_fp8_fp8 v[188:191], a[134:135], a[46:47], v[188:191]// 00000000D214: D3F300BC 1EF25D86
	v_mfma_f32_16x16x32_fp8_fp8 v[200:203], a[136:137], a[40:41], v[200:203]// 00000000D21C: D3F300C8 1F225188
	v_mfma_f32_16x16x32_fp8_fp8 v[200:203], a[138:139], a[42:43], v[200:203]// 00000000D224: D3F300C8 1F22558A
	v_mfma_f32_16x16x32_fp8_fp8 v[200:203], a[140:141], a[44:45], v[200:203]// 00000000D22C: D3F300C8 1F22598C
	v_mfma_f32_16x16x32_fp8_fp8 v[200:203], a[142:143], a[46:47], v[200:203]// 00000000D234: D3F300C8 1F225D8E
	v_mfma_f32_16x16x32_fp8_fp8 v[212:215], a[144:145], a[40:41], v[212:215]// 00000000D23C: D3F300D4 1F525190
	v_mfma_f32_16x16x32_fp8_fp8 v[212:215], a[146:147], a[42:43], v[212:215]// 00000000D244: D3F300D4 1F525592
	v_mfma_f32_16x16x32_fp8_fp8 v[212:215], a[148:149], a[44:45], v[212:215]// 00000000D24C: D3F300D4 1F525994
	v_mfma_f32_16x16x32_fp8_fp8 v[212:215], a[150:151], a[46:47], v[212:215]// 00000000D254: D3F300D4 1F525D96
	v_mfma_f32_16x16x32_fp8_fp8 v[224:227], a[152:153], a[40:41], v[224:227]// 00000000D25C: D3F300E0 1F825198
	v_mfma_f32_16x16x32_fp8_fp8 v[224:227], a[154:155], a[42:43], v[224:227]// 00000000D264: D3F300E0 1F82559A
	v_mfma_f32_16x16x32_fp8_fp8 v[224:227], a[156:157], a[44:45], v[224:227]// 00000000D26C: D3F300E0 1F82599C
	v_mfma_f32_16x16x32_fp8_fp8 v[224:227], a[158:159], a[46:47], v[224:227]// 00000000D274: D3F300E0 1F825D9E
	v_mfma_f32_16x16x32_fp8_fp8 v[236:239], a[160:161], a[40:41], v[236:239]// 00000000D27C: D3F300EC 1FB251A0
	s_add_u32 s60, 0x180, s80                                  // 00000000D284: 803C50FF 00000180
	s_cmp_lt_u32 s60, s81                                      // 00000000D28C: BF0A513C
	s_cselect_b32 s57, s57, 0                                  // 00000000D290: 85398039
	v_mfma_f32_16x16x32_fp8_fp8 v[236:239], a[162:163], a[42:43], v[236:239]// 00000000D294: D3F300EC 1FB255A2
	s_add_u32 s60, 0x100, s80                                  // 00000000D29C: 803C50FF 00000100
	s_cmp_lt_u32 s60, s81                                      // 00000000D2A4: BF0A513C
	s_cselect_b32 s58, s58, 0                                  // 00000000D2A8: 853A803A
	v_mfma_f32_16x16x32_fp8_fp8 v[236:239], a[164:165], a[44:45], v[236:239]// 00000000D2AC: D3F300EC 1FB259A4
	s_add_u32 s60, 0x100, s80                                  // 00000000D2B4: 803C50FF 00000100
	s_cmp_lt_u32 s60, s81                                      // 00000000D2BC: BF0A513C
	s_cselect_b32 s83, s83, 0                                  // 00000000D2C0: 85538053
	v_mfma_f32_16x16x32_fp8_fp8 v[236:239], a[166:167], a[46:47], v[236:239]// 00000000D2C4: D3F300EC 1FB25DA6
	s_add_u32 s24, s58, s24                                    // 00000000D2CC: 8018183A
	s_addc_u32 s25, 0, s25                                     // 00000000D2D0: 82191980
	v_mfma_f32_16x16x32_fp8_fp8 v[248:251], a[168:169], a[40:41], v[248:251]// 00000000D2D4: D3F300F8 1FE251A8
	s_add_u32 s20, s57, s20                                    // 00000000D2DC: 80141439
	s_addc_u32 s21, 0, s21                                     // 00000000D2E0: 82151580
	v_mfma_f32_16x16x32_fp8_fp8 v[248:251], a[170:171], a[42:43], v[248:251]// 00000000D2E4: D3F300F8 1FE255AA
	s_add_u32 s84, s83, s84                                    // 00000000D2EC: 80545453
	s_addc_u32 s85, 0, s85                                     // 00000000D2F0: 82555580
	v_mfma_f32_16x16x32_fp8_fp8 v[248:251], a[172:173], a[44:45], v[248:251]// 00000000D2F4: D3F300F8 1FE259AC
	v_mfma_f32_16x16x32_fp8_fp8 v[248:251], a[174:175], a[46:47], v[248:251]// 00000000D2FC: D3F300F8 1FE25DAE
	s_addk_i32 s80, 0x80                                       // 00000000D304: B7500080
	s_cmp_lt_i32 s80, s81                                      // 00000000D308: BF045150
	s_cbranch_scc0 label_2E3E                                  // 00000000D30C: BF8403F7
	s_waitcnt vmcnt(22) lgkmcnt(0)                             // 00000000D310: BF8C4076
	v_mfma_f32_16x16x32_fp8_fp8 v[60:63], a[176:177], a[0:1], v[60:63]// 00000000D314: D3F3003C 1CF201B0
	buffer_load_dwordx4 a[112:115], v49, s[24:27], 0 offen     // 00000000D31C: E05C1000 80867031
	v_mfma_f32_16x16x32_fp8_fp8 v[60:63], a[178:179], a[2:3], v[60:63]// 00000000D324: D3F3003C 1CF205B2
	v_mfma_f32_16x16x32_fp8_fp8 v[60:63], a[180:181], a[4:5], v[60:63]// 00000000D32C: D3F3003C 1CF209B4
	v_mfma_f32_16x16x32_fp8_fp8 v[60:63], a[182:183], a[6:7], v[60:63]// 00000000D334: D3F3003C 1CF20DB6
	v_mfma_f32_16x16x32_fp8_fp8 v[72:75], a[184:185], a[0:1], v[72:75]// 00000000D33C: D3F30048 1D2201B8
	buffer_load_dwordx4 a[116:119], v49, s[24:27], 0 offen offset:1024// 00000000D344: E05C1400 80867431
	v_mfma_f32_16x16x32_fp8_fp8 v[72:75], a[186:187], a[2:3], v[72:75]// 00000000D34C: D3F30048 1D2205BA
	v_mfma_f32_16x16x32_fp8_fp8 v[72:75], a[188:189], a[4:5], v[72:75]// 00000000D354: D3F30048 1D2209BC
	v_mfma_f32_16x16x32_fp8_fp8 v[72:75], a[190:191], a[6:7], v[72:75]// 00000000D35C: D3F30048 1D220DBE
	v_mfma_f32_16x16x32_fp8_fp8 v[84:87], a[192:193], a[0:1], v[84:87]// 00000000D364: D3F30054 1D5201C0
	buffer_load_dwordx4 a[120:123], v50, s[24:27], 0 offen     // 00000000D36C: E05C1000 80867832
	v_mfma_f32_16x16x32_fp8_fp8 v[84:87], a[194:195], a[2:3], v[84:87]// 00000000D374: D3F30054 1D5205C2
	v_mfma_f32_16x16x32_fp8_fp8 v[84:87], a[196:197], a[4:5], v[84:87]// 00000000D37C: D3F30054 1D5209C4
	v_mfma_f32_16x16x32_fp8_fp8 v[84:87], a[198:199], a[6:7], v[84:87]// 00000000D384: D3F30054 1D520DC6
	v_mfma_f32_16x16x32_fp8_fp8 v[96:99], a[200:201], a[0:1], v[96:99]// 00000000D38C: D3F30060 1D8201C8
	buffer_load_dwordx4 a[124:127], v50, s[24:27], 0 offen offset:1024// 00000000D394: E05C1400 80867C32
	v_mfma_f32_16x16x32_fp8_fp8 v[96:99], a[202:203], a[2:3], v[96:99]// 00000000D39C: D3F30060 1D8205CA
	v_mfma_f32_16x16x32_fp8_fp8 v[96:99], a[204:205], a[4:5], v[96:99]// 00000000D3A4: D3F30060 1D8209CC
	v_mfma_f32_16x16x32_fp8_fp8 v[96:99], a[206:207], a[6:7], v[96:99]// 00000000D3AC: D3F30060 1D820DCE
	v_mfma_f32_16x16x32_fp8_fp8 v[108:111], a[208:209], a[0:1], v[108:111]// 00000000D3B4: D3F3006C 1DB201D0
	buffer_load_dwordx4 a[128:131], v51, s[24:27], 0 offen     // 00000000D3BC: E05C1000 80868033
	v_mfma_f32_16x16x32_fp8_fp8 v[108:111], a[210:211], a[2:3], v[108:111]// 00000000D3C4: D3F3006C 1DB205D2
	v_mfma_f32_16x16x32_fp8_fp8 v[108:111], a[212:213], a[4:5], v[108:111]// 00000000D3CC: D3F3006C 1DB209D4
	v_mfma_f32_16x16x32_fp8_fp8 v[108:111], a[214:215], a[6:7], v[108:111]// 00000000D3D4: D3F3006C 1DB20DD6
	v_mfma_f32_16x16x32_fp8_fp8 v[120:123], a[216:217], a[0:1], v[120:123]// 00000000D3DC: D3F30078 1DE201D8
	buffer_load_dwordx4 a[132:135], v51, s[24:27], 0 offen offset:1024// 00000000D3E4: E05C1400 80868433
	v_mfma_f32_16x16x32_fp8_fp8 v[120:123], a[218:219], a[2:3], v[120:123]// 00000000D3EC: D3F30078 1DE205DA
	v_mfma_f32_16x16x32_fp8_fp8 v[120:123], a[220:221], a[4:5], v[120:123]// 00000000D3F4: D3F30078 1DE209DC
	v_mfma_f32_16x16x32_fp8_fp8 v[120:123], a[222:223], a[6:7], v[120:123]// 00000000D3FC: D3F30078 1DE20DDE
	v_mfma_f32_16x16x32_fp8_fp8 v[132:135], a[224:225], a[0:1], v[132:135]// 00000000D404: D3F30084 1E1201E0
	buffer_load_dwordx4 a[136:139], v52, s[24:27], 0 offen     // 00000000D40C: E05C1000 80868834
	v_mfma_f32_16x16x32_fp8_fp8 v[132:135], a[226:227], a[2:3], v[132:135]// 00000000D414: D3F30084 1E1205E2
	v_mfma_f32_16x16x32_fp8_fp8 v[132:135], a[228:229], a[4:5], v[132:135]// 00000000D41C: D3F30084 1E1209E4
	v_mfma_f32_16x16x32_fp8_fp8 v[132:135], a[230:231], a[6:7], v[132:135]// 00000000D424: D3F30084 1E120DE6
	v_mfma_f32_16x16x32_fp8_fp8 v[144:147], a[232:233], a[0:1], v[144:147]// 00000000D42C: D3F30090 1E4201E8
	buffer_load_dwordx4 a[140:143], v52, s[24:27], 0 offen offset:1024// 00000000D434: E05C1400 80868C34
	v_mfma_f32_16x16x32_fp8_fp8 v[144:147], a[234:235], a[2:3], v[144:147]// 00000000D43C: D3F30090 1E4205EA
	v_mfma_f32_16x16x32_fp8_fp8 v[144:147], a[236:237], a[4:5], v[144:147]// 00000000D444: D3F30090 1E4209EC
	v_mfma_f32_16x16x32_fp8_fp8 v[144:147], a[238:239], a[6:7], v[144:147]// 00000000D44C: D3F30090 1E420DEE
	v_mfma_f32_16x16x32_fp8_fp8 v[64:67], a[176:177], a[8:9], v[64:67]// 00000000D454: D3F30040 1D0211B0
	buffer_load_dwordx4 a[144:147], v53, s[24:27], 0 offen     // 00000000D45C: E05C1000 80869035
	v_mfma_f32_16x16x32_fp8_fp8 v[64:67], a[178:179], a[10:11], v[64:67]// 00000000D464: D3F30040 1D0215B2
	v_mfma_f32_16x16x32_fp8_fp8 v[64:67], a[180:181], a[12:13], v[64:67]// 00000000D46C: D3F30040 1D0219B4
	v_mfma_f32_16x16x32_fp8_fp8 v[64:67], a[182:183], a[14:15], v[64:67]// 00000000D474: D3F30040 1D021DB6
	v_mfma_f32_16x16x32_fp8_fp8 v[76:79], a[184:185], a[8:9], v[76:79]// 00000000D47C: D3F3004C 1D3211B8
	buffer_load_dwordx4 a[148:151], v53, s[24:27], 0 offen offset:1024// 00000000D484: E05C1400 80869435
	v_mfma_f32_16x16x32_fp8_fp8 v[76:79], a[186:187], a[10:11], v[76:79]// 00000000D48C: D3F3004C 1D3215BA
	v_mfma_f32_16x16x32_fp8_fp8 v[76:79], a[188:189], a[12:13], v[76:79]// 00000000D494: D3F3004C 1D3219BC
	v_mfma_f32_16x16x32_fp8_fp8 v[76:79], a[190:191], a[14:15], v[76:79]// 00000000D49C: D3F3004C 1D321DBE
	v_mfma_f32_16x16x32_fp8_fp8 v[88:91], a[192:193], a[8:9], v[88:91]// 00000000D4A4: D3F30058 1D6211C0
	buffer_load_dwordx4 a[152:155], v54, s[24:27], 0 offen     // 00000000D4AC: E05C1000 80869836
	v_mfma_f32_16x16x32_fp8_fp8 v[88:91], a[194:195], a[10:11], v[88:91]// 00000000D4B4: D3F30058 1D6215C2
	v_mfma_f32_16x16x32_fp8_fp8 v[88:91], a[196:197], a[12:13], v[88:91]// 00000000D4BC: D3F30058 1D6219C4
	v_mfma_f32_16x16x32_fp8_fp8 v[88:91], a[198:199], a[14:15], v[88:91]// 00000000D4C4: D3F30058 1D621DC6
	v_mfma_f32_16x16x32_fp8_fp8 v[100:103], a[200:201], a[8:9], v[100:103]// 00000000D4CC: D3F30064 1D9211C8
	buffer_load_dwordx4 a[156:159], v54, s[24:27], 0 offen offset:1024// 00000000D4D4: E05C1400 80869C36
	v_mfma_f32_16x16x32_fp8_fp8 v[100:103], a[202:203], a[10:11], v[100:103]// 00000000D4DC: D3F30064 1D9215CA
	v_mfma_f32_16x16x32_fp8_fp8 v[100:103], a[204:205], a[12:13], v[100:103]// 00000000D4E4: D3F30064 1D9219CC
	v_mfma_f32_16x16x32_fp8_fp8 v[100:103], a[206:207], a[14:15], v[100:103]// 00000000D4EC: D3F30064 1D921DCE
	v_mfma_f32_16x16x32_fp8_fp8 v[112:115], a[208:209], a[8:9], v[112:115]// 00000000D4F4: D3F30070 1DC211D0
	buffer_load_dwordx4 a[160:163], v55, s[24:27], 0 offen     // 00000000D4FC: E05C1000 8086A037
	v_mfma_f32_16x16x32_fp8_fp8 v[112:115], a[210:211], a[10:11], v[112:115]// 00000000D504: D3F30070 1DC215D2
	v_mfma_f32_16x16x32_fp8_fp8 v[112:115], a[212:213], a[12:13], v[112:115]// 00000000D50C: D3F30070 1DC219D4
	v_mfma_f32_16x16x32_fp8_fp8 v[112:115], a[214:215], a[14:15], v[112:115]// 00000000D514: D3F30070 1DC21DD6
	v_mfma_f32_16x16x32_fp8_fp8 v[124:127], a[216:217], a[8:9], v[124:127]// 00000000D51C: D3F3007C 1DF211D8
	buffer_load_dwordx4 a[164:167], v55, s[24:27], 0 offen offset:1024// 00000000D524: E05C1400 8086A437
	v_mfma_f32_16x16x32_fp8_fp8 v[124:127], a[218:219], a[10:11], v[124:127]// 00000000D52C: D3F3007C 1DF215DA
	v_mfma_f32_16x16x32_fp8_fp8 v[124:127], a[220:221], a[12:13], v[124:127]// 00000000D534: D3F3007C 1DF219DC
	v_mfma_f32_16x16x32_fp8_fp8 v[124:127], a[222:223], a[14:15], v[124:127]// 00000000D53C: D3F3007C 1DF21DDE
	v_mfma_f32_16x16x32_fp8_fp8 v[136:139], a[224:225], a[8:9], v[136:139]// 00000000D544: D3F30088 1E2211E0
	buffer_load_dwordx4 a[168:171], v56, s[24:27], 0 offen     // 00000000D54C: E05C1000 8086A838
	v_mfma_f32_16x16x32_fp8_fp8 v[136:139], a[226:227], a[10:11], v[136:139]// 00000000D554: D3F30088 1E2215E2
	v_mfma_f32_16x16x32_fp8_fp8 v[136:139], a[228:229], a[12:13], v[136:139]// 00000000D55C: D3F30088 1E2219E4
	v_mfma_f32_16x16x32_fp8_fp8 v[136:139], a[230:231], a[14:15], v[136:139]// 00000000D564: D3F30088 1E221DE6
	v_mfma_f32_16x16x32_fp8_fp8 v[148:151], a[232:233], a[8:9], v[148:151]// 00000000D56C: D3F30094 1E5211E8
	buffer_load_dwordx4 a[172:175], v56, s[24:27], 0 offen offset:1024// 00000000D574: E05C1400 8086AC38
	buffer_load_dword v43, s[20:23], 0 offen lds               // 00000000D57C: E0511000 8005002B
	s_add_u32 m0, 0x100, s48                                   // 00000000D584: 807C30FF 00000100
	v_mfma_f32_16x16x32_fp8_fp8 v[148:151], a[234:235], a[10:11], v[148:151]// 00000000D58C: D3F30094 1E5215EA
	v_mfma_f32_16x16x32_fp8_fp8 v[148:151], a[236:237], a[12:13], v[148:151]// 00000000D594: D3F30094 1E5219EC
	buffer_load_dword v44, s[20:23], 0 offen lds               // 00000000D59C: E0511000 8005002C
	s_add_u32 m0, 0x200, s48                                   // 00000000D5A4: 807C30FF 00000200
	v_mfma_f32_16x16x32_fp8_fp8 v[148:151], a[238:239], a[14:15], v[148:151]// 00000000D5AC: D3F30094 1E521DEE
	v_mfma_f32_16x16x32_fp8_fp8 v[68:71], a[176:177], a[16:17], v[68:71]// 00000000D5B4: D3F30044 1D1221B0
	buffer_load_dword v45, s[20:23], 0 offen lds               // 00000000D5BC: E0511000 8005002D
	s_add_u32 m0, 0x300, s48                                   // 00000000D5C4: 807C30FF 00000300
	v_mfma_f32_16x16x32_fp8_fp8 v[68:71], a[178:179], a[18:19], v[68:71]// 00000000D5CC: D3F30044 1D1225B2
	v_mfma_f32_16x16x32_fp8_fp8 v[68:71], a[180:181], a[20:21], v[68:71]// 00000000D5D4: D3F30044 1D1229B4
	buffer_load_dword v46, s[20:23], 0 offen lds               // 00000000D5DC: E0511000 8005002E
	s_add_u32 m0, 0x400, s48                                   // 00000000D5E4: 807C30FF 00000400
	v_mfma_f32_16x16x32_fp8_fp8 v[68:71], a[182:183], a[22:23], v[68:71]// 00000000D5EC: D3F30044 1D122DB6
	v_mfma_f32_16x16x32_fp8_fp8 v[80:83], a[184:185], a[16:17], v[80:83]// 00000000D5F4: D3F30050 1D4221B8
	buffer_load_dword v47, s[20:23], 0 offen lds               // 00000000D5FC: E0511000 8005002F
	s_add_u32 m0, 0x500, s48                                   // 00000000D604: 807C30FF 00000500
	v_mfma_f32_16x16x32_fp8_fp8 v[80:83], a[186:187], a[18:19], v[80:83]// 00000000D60C: D3F30050 1D4225BA
	v_mfma_f32_16x16x32_fp8_fp8 v[80:83], a[188:189], a[20:21], v[80:83]// 00000000D614: D3F30050 1D4229BC
	buffer_load_dword v48, s[20:23], 0 offen lds               // 00000000D61C: E0511000 80050030
	s_add_u32 m0, 0, s49                                       // 00000000D624: 807C3180
	v_mfma_f32_16x16x32_fp8_fp8 v[80:83], a[190:191], a[22:23], v[80:83]// 00000000D628: D3F30050 1D422DBE
	v_mfma_f32_16x16x32_fp8_fp8 v[92:95], a[192:193], a[16:17], v[92:95]// 00000000D630: D3F3005C 1D7221C0
	v_mfma_f32_16x16x32_fp8_fp8 v[92:95], a[194:195], a[18:19], v[92:95]// 00000000D638: D3F3005C 1D7225C2
	v_mfma_f32_16x16x32_fp8_fp8 v[92:95], a[196:197], a[20:21], v[92:95]// 00000000D640: D3F3005C 1D7229C4
	v_mfma_f32_16x16x32_fp8_fp8 v[92:95], a[198:199], a[22:23], v[92:95]// 00000000D648: D3F3005C 1D722DC6
	v_mfma_f32_16x16x32_fp8_fp8 v[104:107], a[200:201], a[16:17], v[104:107]// 00000000D650: D3F30068 1DA221C8
	v_mfma_f32_16x16x32_fp8_fp8 v[104:107], a[202:203], a[18:19], v[104:107]// 00000000D658: D3F30068 1DA225CA
	v_mfma_f32_16x16x32_fp8_fp8 v[104:107], a[204:205], a[20:21], v[104:107]// 00000000D660: D3F30068 1DA229CC
	v_mfma_f32_16x16x32_fp8_fp8 v[104:107], a[206:207], a[22:23], v[104:107]// 00000000D668: D3F30068 1DA22DCE
	v_mfma_f32_16x16x32_fp8_fp8 v[116:119], a[208:209], a[16:17], v[116:119]// 00000000D670: D3F30074 1DD221D0
	v_mfma_f32_16x16x32_fp8_fp8 v[116:119], a[210:211], a[18:19], v[116:119]// 00000000D678: D3F30074 1DD225D2
	v_mfma_f32_16x16x32_fp8_fp8 v[116:119], a[212:213], a[20:21], v[116:119]// 00000000D680: D3F30074 1DD229D4
	v_mfma_f32_16x16x32_fp8_fp8 v[116:119], a[214:215], a[22:23], v[116:119]// 00000000D688: D3F30074 1DD22DD6
	v_mfma_f32_16x16x32_fp8_fp8 v[128:131], a[216:217], a[16:17], v[128:131]// 00000000D690: D3F30080 1E0221D8
	v_mfma_f32_16x16x32_fp8_fp8 v[128:131], a[218:219], a[18:19], v[128:131]// 00000000D698: D3F30080 1E0225DA
	v_mfma_f32_16x16x32_fp8_fp8 v[128:131], a[220:221], a[20:21], v[128:131]// 00000000D6A0: D3F30080 1E0229DC
	v_mfma_f32_16x16x32_fp8_fp8 v[128:131], a[222:223], a[22:23], v[128:131]// 00000000D6A8: D3F30080 1E022DDE
	v_mfma_f32_16x16x32_fp8_fp8 v[140:143], a[224:225], a[16:17], v[140:143]// 00000000D6B0: D3F3008C 1E3221E0
	v_mfma_f32_16x16x32_fp8_fp8 v[140:143], a[226:227], a[18:19], v[140:143]// 00000000D6B8: D3F3008C 1E3225E2
	v_mfma_f32_16x16x32_fp8_fp8 v[140:143], a[228:229], a[20:21], v[140:143]// 00000000D6C0: D3F3008C 1E3229E4
	v_mfma_f32_16x16x32_fp8_fp8 v[140:143], a[230:231], a[22:23], v[140:143]// 00000000D6C8: D3F3008C 1E322DE6
	v_mfma_f32_16x16x32_fp8_fp8 v[152:155], a[232:233], a[16:17], v[152:155]// 00000000D6D0: D3F30098 1E6221E8
	v_mfma_f32_16x16x32_fp8_fp8 v[152:155], a[234:235], a[18:19], v[152:155]// 00000000D6D8: D3F30098 1E6225EA
	v_mfma_f32_16x16x32_fp8_fp8 v[152:155], a[236:237], a[20:21], v[152:155]// 00000000D6E0: D3F30098 1E6229EC
	v_mfma_f32_16x16x32_fp8_fp8 v[152:155], a[238:239], a[22:23], v[152:155]// 00000000D6E8: D3F30098 1E622DEE
	s_waitcnt vmcnt(22)                                        // 00000000D6F0: BF8C4F76
	s_barrier                                                  // 00000000D6F4: BF8A0000
	v_mfma_f32_16x16x32_fp8_fp8 v[156:159], a[48:49], a[0:1], v[156:159]// 00000000D6F8: D3F3009C 1E720130
	buffer_load_dwordx4 a[176:179], v49, s[84:87], 0 offen     // 00000000D700: E05C1000 8095B031
	v_mfma_f32_16x16x32_fp8_fp8 v[156:159], a[50:51], a[2:3], v[156:159]// 00000000D708: D3F3009C 1E720532
	v_mfma_f32_16x16x32_fp8_fp8 v[156:159], a[52:53], a[4:5], v[156:159]// 00000000D710: D3F3009C 1E720934
	ds_read_b128 a[24:27], v2 offset:12544                     // 00000000D718: DBFE3100 18000002
	ds_read_b128 a[28:31], v2 offset:12608                     // 00000000D720: DBFE3140 1C000002
	v_mfma_f32_16x16x32_fp8_fp8 v[156:159], a[54:55], a[6:7], v[156:159]// 00000000D728: D3F3009C 1E720D36
	v_mfma_f32_16x16x32_fp8_fp8 v[168:171], a[56:57], a[0:1], v[168:171]// 00000000D730: D3F300A8 1EA20138
	buffer_load_dwordx4 a[180:183], v49, s[84:87], 0 offen offset:1024// 00000000D738: E05C1400 8095B431
	v_mfma_f32_16x16x32_fp8_fp8 v[168:171], a[58:59], a[2:3], v[168:171]// 00000000D740: D3F300A8 1EA2053A
	v_mfma_f32_16x16x32_fp8_fp8 v[168:171], a[60:61], a[4:5], v[168:171]// 00000000D748: D3F300A8 1EA2093C
	ds_read_b128 a[32:35], v2 offset:13056                     // 00000000D750: DBFE3300 20000002
	ds_read_b128 a[36:39], v2 offset:13120                     // 00000000D758: DBFE3340 24000002
	v_mfma_f32_16x16x32_fp8_fp8 v[168:171], a[62:63], a[6:7], v[168:171]// 00000000D760: D3F300A8 1EA20D3E
	v_mfma_f32_16x16x32_fp8_fp8 v[180:183], a[64:65], a[0:1], v[180:183]// 00000000D768: D3F300B4 1ED20140
	buffer_load_dwordx4 a[184:187], v50, s[84:87], 0 offen     // 00000000D770: E05C1000 8095B832
	v_mfma_f32_16x16x32_fp8_fp8 v[180:183], a[66:67], a[2:3], v[180:183]// 00000000D778: D3F300B4 1ED20542
	v_mfma_f32_16x16x32_fp8_fp8 v[180:183], a[68:69], a[4:5], v[180:183]// 00000000D780: D3F300B4 1ED20944
	ds_read_b128 a[40:43], v2 offset:13568                     // 00000000D788: DBFE3500 28000002
	ds_read_b128 a[44:47], v2 offset:13632                     // 00000000D790: DBFE3540 2C000002
	v_mfma_f32_16x16x32_fp8_fp8 v[180:183], a[70:71], a[6:7], v[180:183]// 00000000D798: D3F300B4 1ED20D46
	v_mfma_f32_16x16x32_fp8_fp8 v[192:195], a[72:73], a[0:1], v[192:195]// 00000000D7A0: D3F300C0 1F020148
	buffer_load_dwordx4 a[188:191], v50, s[84:87], 0 offen offset:1024// 00000000D7A8: E05C1400 8095BC32
	v_mfma_f32_16x16x32_fp8_fp8 v[192:195], a[74:75], a[2:3], v[192:195]// 00000000D7B0: D3F300C0 1F02054A
	v_mfma_f32_16x16x32_fp8_fp8 v[192:195], a[76:77], a[4:5], v[192:195]// 00000000D7B8: D3F300C0 1F02094C
	v_mfma_f32_16x16x32_fp8_fp8 v[192:195], a[78:79], a[6:7], v[192:195]// 00000000D7C0: D3F300C0 1F020D4E
	v_mfma_f32_16x16x32_fp8_fp8 v[204:207], a[80:81], a[0:1], v[204:207]// 00000000D7C8: D3F300CC 1F320150
	buffer_load_dwordx4 a[192:195], v51, s[84:87], 0 offen     // 00000000D7D0: E05C1000 8095C033
	v_mfma_f32_16x16x32_fp8_fp8 v[204:207], a[82:83], a[2:3], v[204:207]// 00000000D7D8: D3F300CC 1F320552
	v_mfma_f32_16x16x32_fp8_fp8 v[204:207], a[84:85], a[4:5], v[204:207]// 00000000D7E0: D3F300CC 1F320954
	v_mfma_f32_16x16x32_fp8_fp8 v[204:207], a[86:87], a[6:7], v[204:207]// 00000000D7E8: D3F300CC 1F320D56
	v_mfma_f32_16x16x32_fp8_fp8 v[216:219], a[88:89], a[0:1], v[216:219]// 00000000D7F0: D3F300D8 1F620158
	buffer_load_dwordx4 a[196:199], v51, s[84:87], 0 offen offset:1024// 00000000D7F8: E05C1400 8095C433
	v_mfma_f32_16x16x32_fp8_fp8 v[216:219], a[90:91], a[2:3], v[216:219]// 00000000D800: D3F300D8 1F62055A
	v_mfma_f32_16x16x32_fp8_fp8 v[216:219], a[92:93], a[4:5], v[216:219]// 00000000D808: D3F300D8 1F62095C
	v_mfma_f32_16x16x32_fp8_fp8 v[216:219], a[94:95], a[6:7], v[216:219]// 00000000D810: D3F300D8 1F620D5E
	v_mfma_f32_16x16x32_fp8_fp8 v[228:231], a[96:97], a[0:1], v[228:231]// 00000000D818: D3F300E4 1F920160
	buffer_load_dwordx4 a[200:203], v52, s[84:87], 0 offen     // 00000000D820: E05C1000 8095C834
	v_mfma_f32_16x16x32_fp8_fp8 v[228:231], a[98:99], a[2:3], v[228:231]// 00000000D828: D3F300E4 1F920562
	v_mfma_f32_16x16x32_fp8_fp8 v[228:231], a[100:101], a[4:5], v[228:231]// 00000000D830: D3F300E4 1F920964
	v_mfma_f32_16x16x32_fp8_fp8 v[228:231], a[102:103], a[6:7], v[228:231]// 00000000D838: D3F300E4 1F920D66
	v_mfma_f32_16x16x32_fp8_fp8 v[240:243], a[104:105], a[0:1], v[240:243]// 00000000D840: D3F300F0 1FC20168
	buffer_load_dwordx4 a[204:207], v52, s[84:87], 0 offen offset:1024// 00000000D848: E05C1400 8095CC34
	v_mfma_f32_16x16x32_fp8_fp8 v[240:243], a[106:107], a[2:3], v[240:243]// 00000000D850: D3F300F0 1FC2056A
	v_mfma_f32_16x16x32_fp8_fp8 v[240:243], a[108:109], a[4:5], v[240:243]// 00000000D858: D3F300F0 1FC2096C
	v_mfma_f32_16x16x32_fp8_fp8 v[240:243], a[110:111], a[6:7], v[240:243]// 00000000D860: D3F300F0 1FC20D6E
	v_mfma_f32_16x16x32_fp8_fp8 v[160:163], a[48:49], a[8:9], v[160:163]// 00000000D868: D3F300A0 1E821130
	buffer_load_dwordx4 a[208:211], v53, s[84:87], 0 offen     // 00000000D870: E05C1000 8095D035
	v_mfma_f32_16x16x32_fp8_fp8 v[160:163], a[50:51], a[10:11], v[160:163]// 00000000D878: D3F300A0 1E821532
	v_mfma_f32_16x16x32_fp8_fp8 v[160:163], a[52:53], a[12:13], v[160:163]// 00000000D880: D3F300A0 1E821934
	v_mfma_f32_16x16x32_fp8_fp8 v[160:163], a[54:55], a[14:15], v[160:163]// 00000000D888: D3F300A0 1E821D36
	v_mfma_f32_16x16x32_fp8_fp8 v[172:175], a[56:57], a[8:9], v[172:175]// 00000000D890: D3F300AC 1EB21138
	buffer_load_dwordx4 a[212:215], v53, s[84:87], 0 offen offset:1024// 00000000D898: E05C1400 8095D435
	v_mfma_f32_16x16x32_fp8_fp8 v[172:175], a[58:59], a[10:11], v[172:175]// 00000000D8A0: D3F300AC 1EB2153A
	v_mfma_f32_16x16x32_fp8_fp8 v[172:175], a[60:61], a[12:13], v[172:175]// 00000000D8A8: D3F300AC 1EB2193C
	v_mfma_f32_16x16x32_fp8_fp8 v[172:175], a[62:63], a[14:15], v[172:175]// 00000000D8B0: D3F300AC 1EB21D3E
	v_mfma_f32_16x16x32_fp8_fp8 v[184:187], a[64:65], a[8:9], v[184:187]// 00000000D8B8: D3F300B8 1EE21140
	buffer_load_dwordx4 a[216:219], v54, s[84:87], 0 offen     // 00000000D8C0: E05C1000 8095D836
	v_mfma_f32_16x16x32_fp8_fp8 v[184:187], a[66:67], a[10:11], v[184:187]// 00000000D8C8: D3F300B8 1EE21542
	v_mfma_f32_16x16x32_fp8_fp8 v[184:187], a[68:69], a[12:13], v[184:187]// 00000000D8D0: D3F300B8 1EE21944
	v_mfma_f32_16x16x32_fp8_fp8 v[184:187], a[70:71], a[14:15], v[184:187]// 00000000D8D8: D3F300B8 1EE21D46
	v_mfma_f32_16x16x32_fp8_fp8 v[196:199], a[72:73], a[8:9], v[196:199]// 00000000D8E0: D3F300C4 1F121148
	buffer_load_dwordx4 a[220:223], v54, s[84:87], 0 offen offset:1024// 00000000D8E8: E05C1400 8095DC36
	v_mfma_f32_16x16x32_fp8_fp8 v[196:199], a[74:75], a[10:11], v[196:199]// 00000000D8F0: D3F300C4 1F12154A
	v_mfma_f32_16x16x32_fp8_fp8 v[196:199], a[76:77], a[12:13], v[196:199]// 00000000D8F8: D3F300C4 1F12194C
	v_mfma_f32_16x16x32_fp8_fp8 v[196:199], a[78:79], a[14:15], v[196:199]// 00000000D900: D3F300C4 1F121D4E
	v_mfma_f32_16x16x32_fp8_fp8 v[208:211], a[80:81], a[8:9], v[208:211]// 00000000D908: D3F300D0 1F421150
	buffer_load_dwordx4 a[224:227], v55, s[84:87], 0 offen     // 00000000D910: E05C1000 8095E037
	v_mfma_f32_16x16x32_fp8_fp8 v[208:211], a[82:83], a[10:11], v[208:211]// 00000000D918: D3F300D0 1F421552
	v_mfma_f32_16x16x32_fp8_fp8 v[208:211], a[84:85], a[12:13], v[208:211]// 00000000D920: D3F300D0 1F421954
	v_mfma_f32_16x16x32_fp8_fp8 v[208:211], a[86:87], a[14:15], v[208:211]// 00000000D928: D3F300D0 1F421D56
	v_mfma_f32_16x16x32_fp8_fp8 v[220:223], a[88:89], a[8:9], v[220:223]// 00000000D930: D3F300DC 1F721158
	buffer_load_dwordx4 a[228:231], v55, s[84:87], 0 offen offset:1024// 00000000D938: E05C1400 8095E437
	v_mfma_f32_16x16x32_fp8_fp8 v[220:223], a[90:91], a[10:11], v[220:223]// 00000000D940: D3F300DC 1F72155A
	v_mfma_f32_16x16x32_fp8_fp8 v[220:223], a[92:93], a[12:13], v[220:223]// 00000000D948: D3F300DC 1F72195C
	v_mfma_f32_16x16x32_fp8_fp8 v[220:223], a[94:95], a[14:15], v[220:223]// 00000000D950: D3F300DC 1F721D5E
	v_mfma_f32_16x16x32_fp8_fp8 v[232:235], a[96:97], a[8:9], v[232:235]// 00000000D958: D3F300E8 1FA21160
	buffer_load_dwordx4 a[232:235], v56, s[84:87], 0 offen     // 00000000D960: E05C1000 8095E838
	v_mfma_f32_16x16x32_fp8_fp8 v[232:235], a[98:99], a[10:11], v[232:235]// 00000000D968: D3F300E8 1FA21562
	v_mfma_f32_16x16x32_fp8_fp8 v[232:235], a[100:101], a[12:13], v[232:235]// 00000000D970: D3F300E8 1FA21964
	v_mfma_f32_16x16x32_fp8_fp8 v[232:235], a[102:103], a[14:15], v[232:235]// 00000000D978: D3F300E8 1FA21D66
	v_mfma_f32_16x16x32_fp8_fp8 v[244:247], a[104:105], a[8:9], v[244:247]// 00000000D980: D3F300F4 1FD21168
	buffer_load_dwordx4 a[236:239], v56, s[84:87], 0 offen offset:1024// 00000000D988: E05C1400 8095EC38
	v_mfma_f32_16x16x32_fp8_fp8 v[244:247], a[106:107], a[10:11], v[244:247]// 00000000D990: D3F300F4 1FD2156A
	v_mfma_f32_16x16x32_fp8_fp8 v[244:247], a[108:109], a[12:13], v[244:247]// 00000000D998: D3F300F4 1FD2196C
	v_mfma_f32_16x16x32_fp8_fp8 v[244:247], a[110:111], a[14:15], v[244:247]// 00000000D9A0: D3F300F4 1FD21D6E
	v_mfma_f32_16x16x32_fp8_fp8 v[164:167], a[48:49], a[16:17], v[164:167]// 00000000D9A8: D3F300A4 1E922130
	v_mfma_f32_16x16x32_fp8_fp8 v[164:167], a[50:51], a[18:19], v[164:167]// 00000000D9B0: D3F300A4 1E922532
	v_mfma_f32_16x16x32_fp8_fp8 v[164:167], a[52:53], a[20:21], v[164:167]// 00000000D9B8: D3F300A4 1E922934
	v_mfma_f32_16x16x32_fp8_fp8 v[164:167], a[54:55], a[22:23], v[164:167]// 00000000D9C0: D3F300A4 1E922D36
	v_mfma_f32_16x16x32_fp8_fp8 v[176:179], a[56:57], a[16:17], v[176:179]// 00000000D9C8: D3F300B0 1EC22138
	v_mfma_f32_16x16x32_fp8_fp8 v[176:179], a[58:59], a[18:19], v[176:179]// 00000000D9D0: D3F300B0 1EC2253A
	v_mfma_f32_16x16x32_fp8_fp8 v[176:179], a[60:61], a[20:21], v[176:179]// 00000000D9D8: D3F300B0 1EC2293C
	v_mfma_f32_16x16x32_fp8_fp8 v[176:179], a[62:63], a[22:23], v[176:179]// 00000000D9E0: D3F300B0 1EC22D3E
	v_mfma_f32_16x16x32_fp8_fp8 v[188:191], a[64:65], a[16:17], v[188:191]// 00000000D9E8: D3F300BC 1EF22140
	v_mfma_f32_16x16x32_fp8_fp8 v[188:191], a[66:67], a[18:19], v[188:191]// 00000000D9F0: D3F300BC 1EF22542
	v_mfma_f32_16x16x32_fp8_fp8 v[188:191], a[68:69], a[20:21], v[188:191]// 00000000D9F8: D3F300BC 1EF22944
	v_mfma_f32_16x16x32_fp8_fp8 v[188:191], a[70:71], a[22:23], v[188:191]// 00000000DA00: D3F300BC 1EF22D46
	v_mfma_f32_16x16x32_fp8_fp8 v[200:203], a[72:73], a[16:17], v[200:203]// 00000000DA08: D3F300C8 1F222148
	v_mfma_f32_16x16x32_fp8_fp8 v[200:203], a[74:75], a[18:19], v[200:203]// 00000000DA10: D3F300C8 1F22254A
	v_mfma_f32_16x16x32_fp8_fp8 v[200:203], a[76:77], a[20:21], v[200:203]// 00000000DA18: D3F300C8 1F22294C
	v_mfma_f32_16x16x32_fp8_fp8 v[200:203], a[78:79], a[22:23], v[200:203]// 00000000DA20: D3F300C8 1F222D4E
	v_mfma_f32_16x16x32_fp8_fp8 v[212:215], a[80:81], a[16:17], v[212:215]// 00000000DA28: D3F300D4 1F522150
	v_mfma_f32_16x16x32_fp8_fp8 v[212:215], a[82:83], a[18:19], v[212:215]// 00000000DA30: D3F300D4 1F522552
	v_mfma_f32_16x16x32_fp8_fp8 v[212:215], a[84:85], a[20:21], v[212:215]// 00000000DA38: D3F300D4 1F522954
	v_mfma_f32_16x16x32_fp8_fp8 v[212:215], a[86:87], a[22:23], v[212:215]// 00000000DA40: D3F300D4 1F522D56
	v_mfma_f32_16x16x32_fp8_fp8 v[224:227], a[88:89], a[16:17], v[224:227]// 00000000DA48: D3F300E0 1F822158
	v_mfma_f32_16x16x32_fp8_fp8 v[224:227], a[90:91], a[18:19], v[224:227]// 00000000DA50: D3F300E0 1F82255A
	v_mfma_f32_16x16x32_fp8_fp8 v[224:227], a[92:93], a[20:21], v[224:227]// 00000000DA58: D3F300E0 1F82295C
	v_mfma_f32_16x16x32_fp8_fp8 v[224:227], a[94:95], a[22:23], v[224:227]// 00000000DA60: D3F300E0 1F822D5E
	v_mfma_f32_16x16x32_fp8_fp8 v[236:239], a[96:97], a[16:17], v[236:239]// 00000000DA68: D3F300EC 1FB22160
	s_add_u32 s60, 0x180, s80                                  // 00000000DA70: 803C50FF 00000180
	s_cmp_lt_u32 s60, s81                                      // 00000000DA78: BF0A513C
	s_cselect_b32 s57, s57, 0                                  // 00000000DA7C: 85398039
	v_mfma_f32_16x16x32_fp8_fp8 v[236:239], a[98:99], a[18:19], v[236:239]// 00000000DA80: D3F300EC 1FB22562
	s_add_u32 s60, 0x100, s80                                  // 00000000DA88: 803C50FF 00000100
	s_cmp_lt_u32 s60, s81                                      // 00000000DA90: BF0A513C
	s_cselect_b32 s58, s58, 0                                  // 00000000DA94: 853A803A
	v_mfma_f32_16x16x32_fp8_fp8 v[236:239], a[100:101], a[20:21], v[236:239]// 00000000DA98: D3F300EC 1FB22964
	s_add_u32 s60, 0x100, s80                                  // 00000000DAA0: 803C50FF 00000100
	s_cmp_lt_u32 s60, s81                                      // 00000000DAA8: BF0A513C
	s_cselect_b32 s83, s83, 0                                  // 00000000DAAC: 85538053
	v_mfma_f32_16x16x32_fp8_fp8 v[236:239], a[102:103], a[22:23], v[236:239]// 00000000DAB0: D3F300EC 1FB22D66
	s_add_u32 s24, s58, s24                                    // 00000000DAB8: 8018183A
	s_addc_u32 s25, 0, s25                                     // 00000000DABC: 82191980
	v_mfma_f32_16x16x32_fp8_fp8 v[248:251], a[104:105], a[16:17], v[248:251]// 00000000DAC0: D3F300F8 1FE22168
	s_add_u32 s20, s57, s20                                    // 00000000DAC8: 80141439
	s_addc_u32 s21, 0, s21                                     // 00000000DACC: 82151580
	v_mfma_f32_16x16x32_fp8_fp8 v[248:251], a[106:107], a[18:19], v[248:251]// 00000000DAD0: D3F300F8 1FE2256A
	s_add_u32 s84, s83, s84                                    // 00000000DAD8: 80545453
	s_addc_u32 s85, 0, s85                                     // 00000000DADC: 82555580
	v_mfma_f32_16x16x32_fp8_fp8 v[248:251], a[108:109], a[20:21], v[248:251]// 00000000DAE0: D3F300F8 1FE2296C
	v_mfma_f32_16x16x32_fp8_fp8 v[248:251], a[110:111], a[22:23], v[248:251]// 00000000DAE8: D3F300F8 1FE22D6E
	s_addk_i32 s80, 0x80                                       // 00000000DAF0: B7500080
	s_cmp_lt_i32 s80, s81                                      // 00000000DAF4: BF045150
	s_cbranch_scc0 label_2E3E                                  // 00000000DAF8: BF8401FC
	s_waitcnt vmcnt(22) lgkmcnt(0)                             // 00000000DAFC: BF8C4076
	v_mfma_f32_16x16x32_fp8_fp8 v[60:63], a[112:113], a[24:25], v[60:63]// 00000000DB00: D3F3003C 1CF23170
	buffer_load_dwordx4 a[48:51], v49, s[24:27], 0 offen       // 00000000DB08: E05C1000 80863031
	v_mfma_f32_16x16x32_fp8_fp8 v[60:63], a[114:115], a[26:27], v[60:63]// 00000000DB10: D3F3003C 1CF23572
	v_mfma_f32_16x16x32_fp8_fp8 v[60:63], a[116:117], a[28:29], v[60:63]// 00000000DB18: D3F3003C 1CF23974
	v_mfma_f32_16x16x32_fp8_fp8 v[60:63], a[118:119], a[30:31], v[60:63]// 00000000DB20: D3F3003C 1CF23D76
	v_mfma_f32_16x16x32_fp8_fp8 v[72:75], a[120:121], a[24:25], v[72:75]// 00000000DB28: D3F30048 1D223178
	buffer_load_dwordx4 a[52:55], v49, s[24:27], 0 offen offset:1024// 00000000DB30: E05C1400 80863431
	v_mfma_f32_16x16x32_fp8_fp8 v[72:75], a[122:123], a[26:27], v[72:75]// 00000000DB38: D3F30048 1D22357A
	v_mfma_f32_16x16x32_fp8_fp8 v[72:75], a[124:125], a[28:29], v[72:75]// 00000000DB40: D3F30048 1D22397C
	v_mfma_f32_16x16x32_fp8_fp8 v[72:75], a[126:127], a[30:31], v[72:75]// 00000000DB48: D3F30048 1D223D7E
	v_mfma_f32_16x16x32_fp8_fp8 v[84:87], a[128:129], a[24:25], v[84:87]// 00000000DB50: D3F30054 1D523180
	buffer_load_dwordx4 a[56:59], v50, s[24:27], 0 offen       // 00000000DB58: E05C1000 80863832
	v_mfma_f32_16x16x32_fp8_fp8 v[84:87], a[130:131], a[26:27], v[84:87]// 00000000DB60: D3F30054 1D523582
	v_mfma_f32_16x16x32_fp8_fp8 v[84:87], a[132:133], a[28:29], v[84:87]// 00000000DB68: D3F30054 1D523984
	v_mfma_f32_16x16x32_fp8_fp8 v[84:87], a[134:135], a[30:31], v[84:87]// 00000000DB70: D3F30054 1D523D86
	v_mfma_f32_16x16x32_fp8_fp8 v[96:99], a[136:137], a[24:25], v[96:99]// 00000000DB78: D3F30060 1D823188
	buffer_load_dwordx4 a[60:63], v50, s[24:27], 0 offen offset:1024// 00000000DB80: E05C1400 80863C32
	v_mfma_f32_16x16x32_fp8_fp8 v[96:99], a[138:139], a[26:27], v[96:99]// 00000000DB88: D3F30060 1D82358A
	v_mfma_f32_16x16x32_fp8_fp8 v[96:99], a[140:141], a[28:29], v[96:99]// 00000000DB90: D3F30060 1D82398C
	v_mfma_f32_16x16x32_fp8_fp8 v[96:99], a[142:143], a[30:31], v[96:99]// 00000000DB98: D3F30060 1D823D8E
	v_mfma_f32_16x16x32_fp8_fp8 v[108:111], a[144:145], a[24:25], v[108:111]// 00000000DBA0: D3F3006C 1DB23190
	buffer_load_dwordx4 a[64:67], v51, s[24:27], 0 offen       // 00000000DBA8: E05C1000 80864033
	v_mfma_f32_16x16x32_fp8_fp8 v[108:111], a[146:147], a[26:27], v[108:111]// 00000000DBB0: D3F3006C 1DB23592
	v_mfma_f32_16x16x32_fp8_fp8 v[108:111], a[148:149], a[28:29], v[108:111]// 00000000DBB8: D3F3006C 1DB23994
	v_mfma_f32_16x16x32_fp8_fp8 v[108:111], a[150:151], a[30:31], v[108:111]// 00000000DBC0: D3F3006C 1DB23D96
	v_mfma_f32_16x16x32_fp8_fp8 v[120:123], a[152:153], a[24:25], v[120:123]// 00000000DBC8: D3F30078 1DE23198
	buffer_load_dwordx4 a[68:71], v51, s[24:27], 0 offen offset:1024// 00000000DBD0: E05C1400 80864433
	v_mfma_f32_16x16x32_fp8_fp8 v[120:123], a[154:155], a[26:27], v[120:123]// 00000000DBD8: D3F30078 1DE2359A
	v_mfma_f32_16x16x32_fp8_fp8 v[120:123], a[156:157], a[28:29], v[120:123]// 00000000DBE0: D3F30078 1DE2399C
	v_mfma_f32_16x16x32_fp8_fp8 v[120:123], a[158:159], a[30:31], v[120:123]// 00000000DBE8: D3F30078 1DE23D9E
	v_mfma_f32_16x16x32_fp8_fp8 v[132:135], a[160:161], a[24:25], v[132:135]// 00000000DBF0: D3F30084 1E1231A0
	buffer_load_dwordx4 a[72:75], v52, s[24:27], 0 offen       // 00000000DBF8: E05C1000 80864834
	v_mfma_f32_16x16x32_fp8_fp8 v[132:135], a[162:163], a[26:27], v[132:135]// 00000000DC00: D3F30084 1E1235A2
	v_mfma_f32_16x16x32_fp8_fp8 v[132:135], a[164:165], a[28:29], v[132:135]// 00000000DC08: D3F30084 1E1239A4
	v_mfma_f32_16x16x32_fp8_fp8 v[132:135], a[166:167], a[30:31], v[132:135]// 00000000DC10: D3F30084 1E123DA6
	v_mfma_f32_16x16x32_fp8_fp8 v[144:147], a[168:169], a[24:25], v[144:147]// 00000000DC18: D3F30090 1E4231A8
	buffer_load_dwordx4 a[76:79], v52, s[24:27], 0 offen offset:1024// 00000000DC20: E05C1400 80864C34
	v_mfma_f32_16x16x32_fp8_fp8 v[144:147], a[170:171], a[26:27], v[144:147]// 00000000DC28: D3F30090 1E4235AA
	v_mfma_f32_16x16x32_fp8_fp8 v[144:147], a[172:173], a[28:29], v[144:147]// 00000000DC30: D3F30090 1E4239AC
	v_mfma_f32_16x16x32_fp8_fp8 v[144:147], a[174:175], a[30:31], v[144:147]// 00000000DC38: D3F30090 1E423DAE
	v_mfma_f32_16x16x32_fp8_fp8 v[64:67], a[112:113], a[32:33], v[64:67]// 00000000DC40: D3F30040 1D024170
	buffer_load_dwordx4 a[80:83], v53, s[24:27], 0 offen       // 00000000DC48: E05C1000 80865035
	v_mfma_f32_16x16x32_fp8_fp8 v[64:67], a[114:115], a[34:35], v[64:67]// 00000000DC50: D3F30040 1D024572
	v_mfma_f32_16x16x32_fp8_fp8 v[64:67], a[116:117], a[36:37], v[64:67]// 00000000DC58: D3F30040 1D024974
	v_mfma_f32_16x16x32_fp8_fp8 v[64:67], a[118:119], a[38:39], v[64:67]// 00000000DC60: D3F30040 1D024D76
	v_mfma_f32_16x16x32_fp8_fp8 v[76:79], a[120:121], a[32:33], v[76:79]// 00000000DC68: D3F3004C 1D324178
	buffer_load_dwordx4 a[84:87], v53, s[24:27], 0 offen offset:1024// 00000000DC70: E05C1400 80865435
	v_mfma_f32_16x16x32_fp8_fp8 v[76:79], a[122:123], a[34:35], v[76:79]// 00000000DC78: D3F3004C 1D32457A
	v_mfma_f32_16x16x32_fp8_fp8 v[76:79], a[124:125], a[36:37], v[76:79]// 00000000DC80: D3F3004C 1D32497C
	v_mfma_f32_16x16x32_fp8_fp8 v[76:79], a[126:127], a[38:39], v[76:79]// 00000000DC88: D3F3004C 1D324D7E
	v_mfma_f32_16x16x32_fp8_fp8 v[88:91], a[128:129], a[32:33], v[88:91]// 00000000DC90: D3F30058 1D624180
	buffer_load_dwordx4 a[88:91], v54, s[24:27], 0 offen       // 00000000DC98: E05C1000 80865836
	v_mfma_f32_16x16x32_fp8_fp8 v[88:91], a[130:131], a[34:35], v[88:91]// 00000000DCA0: D3F30058 1D624582
	v_mfma_f32_16x16x32_fp8_fp8 v[88:91], a[132:133], a[36:37], v[88:91]// 00000000DCA8: D3F30058 1D624984
	v_mfma_f32_16x16x32_fp8_fp8 v[88:91], a[134:135], a[38:39], v[88:91]// 00000000DCB0: D3F30058 1D624D86
	v_mfma_f32_16x16x32_fp8_fp8 v[100:103], a[136:137], a[32:33], v[100:103]// 00000000DCB8: D3F30064 1D924188
	buffer_load_dwordx4 a[92:95], v54, s[24:27], 0 offen offset:1024// 00000000DCC0: E05C1400 80865C36
	v_mfma_f32_16x16x32_fp8_fp8 v[100:103], a[138:139], a[34:35], v[100:103]// 00000000DCC8: D3F30064 1D92458A
	v_mfma_f32_16x16x32_fp8_fp8 v[100:103], a[140:141], a[36:37], v[100:103]// 00000000DCD0: D3F30064 1D92498C
	v_mfma_f32_16x16x32_fp8_fp8 v[100:103], a[142:143], a[38:39], v[100:103]// 00000000DCD8: D3F30064 1D924D8E
	v_mfma_f32_16x16x32_fp8_fp8 v[112:115], a[144:145], a[32:33], v[112:115]// 00000000DCE0: D3F30070 1DC24190
	buffer_load_dwordx4 a[96:99], v55, s[24:27], 0 offen       // 00000000DCE8: E05C1000 80866037
	v_mfma_f32_16x16x32_fp8_fp8 v[112:115], a[146:147], a[34:35], v[112:115]// 00000000DCF0: D3F30070 1DC24592
	v_mfma_f32_16x16x32_fp8_fp8 v[112:115], a[148:149], a[36:37], v[112:115]// 00000000DCF8: D3F30070 1DC24994
	v_mfma_f32_16x16x32_fp8_fp8 v[112:115], a[150:151], a[38:39], v[112:115]// 00000000DD00: D3F30070 1DC24D96
	v_mfma_f32_16x16x32_fp8_fp8 v[124:127], a[152:153], a[32:33], v[124:127]// 00000000DD08: D3F3007C 1DF24198
	buffer_load_dwordx4 a[100:103], v55, s[24:27], 0 offen offset:1024// 00000000DD10: E05C1400 80866437
	v_mfma_f32_16x16x32_fp8_fp8 v[124:127], a[154:155], a[34:35], v[124:127]// 00000000DD18: D3F3007C 1DF2459A
	v_mfma_f32_16x16x32_fp8_fp8 v[124:127], a[156:157], a[36:37], v[124:127]// 00000000DD20: D3F3007C 1DF2499C
	v_mfma_f32_16x16x32_fp8_fp8 v[124:127], a[158:159], a[38:39], v[124:127]// 00000000DD28: D3F3007C 1DF24D9E
	v_mfma_f32_16x16x32_fp8_fp8 v[136:139], a[160:161], a[32:33], v[136:139]// 00000000DD30: D3F30088 1E2241A0
	buffer_load_dwordx4 a[104:107], v56, s[24:27], 0 offen     // 00000000DD38: E05C1000 80866838
	v_mfma_f32_16x16x32_fp8_fp8 v[136:139], a[162:163], a[34:35], v[136:139]// 00000000DD40: D3F30088 1E2245A2
	v_mfma_f32_16x16x32_fp8_fp8 v[136:139], a[164:165], a[36:37], v[136:139]// 00000000DD48: D3F30088 1E2249A4
	v_mfma_f32_16x16x32_fp8_fp8 v[136:139], a[166:167], a[38:39], v[136:139]// 00000000DD50: D3F30088 1E224DA6
	v_mfma_f32_16x16x32_fp8_fp8 v[148:151], a[168:169], a[32:33], v[148:151]// 00000000DD58: D3F30094 1E5241A8
	buffer_load_dwordx4 a[108:111], v56, s[24:27], 0 offen offset:1024// 00000000DD60: E05C1400 80866C38
	buffer_load_dword v43, s[20:23], 0 offen lds               // 00000000DD68: E0511000 8005002B
	s_add_u32 m0, 0x100, s49                                   // 00000000DD70: 807C31FF 00000100
	v_mfma_f32_16x16x32_fp8_fp8 v[148:151], a[170:171], a[34:35], v[148:151]// 00000000DD78: D3F30094 1E5245AA
	v_mfma_f32_16x16x32_fp8_fp8 v[148:151], a[172:173], a[36:37], v[148:151]// 00000000DD80: D3F30094 1E5249AC
	buffer_load_dword v44, s[20:23], 0 offen lds               // 00000000DD88: E0511000 8005002C
	s_add_u32 m0, 0x200, s49                                   // 00000000DD90: 807C31FF 00000200
	v_mfma_f32_16x16x32_fp8_fp8 v[148:151], a[174:175], a[38:39], v[148:151]// 00000000DD98: D3F30094 1E524DAE
	v_mfma_f32_16x16x32_fp8_fp8 v[68:71], a[112:113], a[40:41], v[68:71]// 00000000DDA0: D3F30044 1D125170
	buffer_load_dword v45, s[20:23], 0 offen lds               // 00000000DDA8: E0511000 8005002D
	s_add_u32 m0, 0x300, s49                                   // 00000000DDB0: 807C31FF 00000300
	v_mfma_f32_16x16x32_fp8_fp8 v[68:71], a[114:115], a[42:43], v[68:71]// 00000000DDB8: D3F30044 1D125572
	v_mfma_f32_16x16x32_fp8_fp8 v[68:71], a[116:117], a[44:45], v[68:71]// 00000000DDC0: D3F30044 1D125974
	buffer_load_dword v46, s[20:23], 0 offen lds               // 00000000DDC8: E0511000 8005002E
	s_add_u32 m0, 0x400, s49                                   // 00000000DDD0: 807C31FF 00000400
	v_mfma_f32_16x16x32_fp8_fp8 v[68:71], a[118:119], a[46:47], v[68:71]// 00000000DDD8: D3F30044 1D125D76
	v_mfma_f32_16x16x32_fp8_fp8 v[80:83], a[120:121], a[40:41], v[80:83]// 00000000DDE0: D3F30050 1D425178
	buffer_load_dword v47, s[20:23], 0 offen lds               // 00000000DDE8: E0511000 8005002F
	s_add_u32 m0, 0x500, s49                                   // 00000000DDF0: 807C31FF 00000500
	v_mfma_f32_16x16x32_fp8_fp8 v[80:83], a[122:123], a[42:43], v[80:83]// 00000000DDF8: D3F30050 1D42557A
	v_mfma_f32_16x16x32_fp8_fp8 v[80:83], a[124:125], a[44:45], v[80:83]// 00000000DE00: D3F30050 1D42597C
	buffer_load_dword v48, s[20:23], 0 offen lds               // 00000000DE08: E0511000 80050030
	s_add_u32 m0, 0, s50                                       // 00000000DE10: 807C3280
	v_mfma_f32_16x16x32_fp8_fp8 v[80:83], a[126:127], a[46:47], v[80:83]// 00000000DE14: D3F30050 1D425D7E
	v_mfma_f32_16x16x32_fp8_fp8 v[92:95], a[128:129], a[40:41], v[92:95]// 00000000DE1C: D3F3005C 1D725180
	v_mfma_f32_16x16x32_fp8_fp8 v[92:95], a[130:131], a[42:43], v[92:95]// 00000000DE24: D3F3005C 1D725582
	v_mfma_f32_16x16x32_fp8_fp8 v[92:95], a[132:133], a[44:45], v[92:95]// 00000000DE2C: D3F3005C 1D725984
	v_mfma_f32_16x16x32_fp8_fp8 v[92:95], a[134:135], a[46:47], v[92:95]// 00000000DE34: D3F3005C 1D725D86
	v_mfma_f32_16x16x32_fp8_fp8 v[104:107], a[136:137], a[40:41], v[104:107]// 00000000DE3C: D3F30068 1DA25188
	v_mfma_f32_16x16x32_fp8_fp8 v[104:107], a[138:139], a[42:43], v[104:107]// 00000000DE44: D3F30068 1DA2558A
	v_mfma_f32_16x16x32_fp8_fp8 v[104:107], a[140:141], a[44:45], v[104:107]// 00000000DE4C: D3F30068 1DA2598C
	v_mfma_f32_16x16x32_fp8_fp8 v[104:107], a[142:143], a[46:47], v[104:107]// 00000000DE54: D3F30068 1DA25D8E
	v_mfma_f32_16x16x32_fp8_fp8 v[116:119], a[144:145], a[40:41], v[116:119]// 00000000DE5C: D3F30074 1DD25190
	v_mfma_f32_16x16x32_fp8_fp8 v[116:119], a[146:147], a[42:43], v[116:119]// 00000000DE64: D3F30074 1DD25592
	v_mfma_f32_16x16x32_fp8_fp8 v[116:119], a[148:149], a[44:45], v[116:119]// 00000000DE6C: D3F30074 1DD25994
	v_mfma_f32_16x16x32_fp8_fp8 v[116:119], a[150:151], a[46:47], v[116:119]// 00000000DE74: D3F30074 1DD25D96
	v_mfma_f32_16x16x32_fp8_fp8 v[128:131], a[152:153], a[40:41], v[128:131]// 00000000DE7C: D3F30080 1E025198
	v_mfma_f32_16x16x32_fp8_fp8 v[128:131], a[154:155], a[42:43], v[128:131]// 00000000DE84: D3F30080 1E02559A
	v_mfma_f32_16x16x32_fp8_fp8 v[128:131], a[156:157], a[44:45], v[128:131]// 00000000DE8C: D3F30080 1E02599C
	v_mfma_f32_16x16x32_fp8_fp8 v[128:131], a[158:159], a[46:47], v[128:131]// 00000000DE94: D3F30080 1E025D9E
	v_mfma_f32_16x16x32_fp8_fp8 v[140:143], a[160:161], a[40:41], v[140:143]// 00000000DE9C: D3F3008C 1E3251A0
	v_mfma_f32_16x16x32_fp8_fp8 v[140:143], a[162:163], a[42:43], v[140:143]// 00000000DEA4: D3F3008C 1E3255A2
	v_mfma_f32_16x16x32_fp8_fp8 v[140:143], a[164:165], a[44:45], v[140:143]// 00000000DEAC: D3F3008C 1E3259A4
	v_mfma_f32_16x16x32_fp8_fp8 v[140:143], a[166:167], a[46:47], v[140:143]// 00000000DEB4: D3F3008C 1E325DA6
	v_mfma_f32_16x16x32_fp8_fp8 v[152:155], a[168:169], a[40:41], v[152:155]// 00000000DEBC: D3F30098 1E6251A8
	v_mfma_f32_16x16x32_fp8_fp8 v[152:155], a[170:171], a[42:43], v[152:155]// 00000000DEC4: D3F30098 1E6255AA
	v_mfma_f32_16x16x32_fp8_fp8 v[152:155], a[172:173], a[44:45], v[152:155]// 00000000DECC: D3F30098 1E6259AC
	v_mfma_f32_16x16x32_fp8_fp8 v[152:155], a[174:175], a[46:47], v[152:155]// 00000000DED4: D3F30098 1E625DAE
	s_waitcnt vmcnt(22)                                        // 00000000DEDC: BF8C4F76
	s_barrier                                                  // 00000000DEE0: BF8A0000
	v_mfma_f32_16x16x32_fp8_fp8 v[156:159], a[176:177], a[24:25], v[156:159]// 00000000DEE4: D3F3009C 1E7231B0
	buffer_load_dwordx4 a[112:115], v49, s[84:87], 0 offen     // 00000000DEEC: E05C1000 80957031
	v_mfma_f32_16x16x32_fp8_fp8 v[156:159], a[178:179], a[26:27], v[156:159]// 00000000DEF4: D3F3009C 1E7235B2
	v_mfma_f32_16x16x32_fp8_fp8 v[156:159], a[180:181], a[28:29], v[156:159]// 00000000DEFC: D3F3009C 1E7239B4
	ds_read_b128 a[0:3], v2                                    // 00000000DF04: DBFE0000 00000002
	ds_read_b128 a[4:7], v2 offset:64                          // 00000000DF0C: DBFE0040 04000002
	v_mfma_f32_16x16x32_fp8_fp8 v[156:159], a[182:183], a[30:31], v[156:159]// 00000000DF14: D3F3009C 1E723DB6
	v_mfma_f32_16x16x32_fp8_fp8 v[168:171], a[184:185], a[24:25], v[168:171]// 00000000DF1C: D3F300A8 1EA231B8
	buffer_load_dwordx4 a[116:119], v49, s[84:87], 0 offen offset:1024// 00000000DF24: E05C1400 80957431
	v_mfma_f32_16x16x32_fp8_fp8 v[168:171], a[186:187], a[26:27], v[168:171]// 00000000DF2C: D3F300A8 1EA235BA
	v_mfma_f32_16x16x32_fp8_fp8 v[168:171], a[188:189], a[28:29], v[168:171]// 00000000DF34: D3F300A8 1EA239BC
	ds_read_b128 a[8:11], v2 offset:512                        // 00000000DF3C: DBFE0200 08000002
	ds_read_b128 a[12:15], v2 offset:576                       // 00000000DF44: DBFE0240 0C000002
	v_mfma_f32_16x16x32_fp8_fp8 v[168:171], a[190:191], a[30:31], v[168:171]// 00000000DF4C: D3F300A8 1EA23DBE
	v_mfma_f32_16x16x32_fp8_fp8 v[180:183], a[192:193], a[24:25], v[180:183]// 00000000DF54: D3F300B4 1ED231C0
	buffer_load_dwordx4 a[120:123], v50, s[84:87], 0 offen     // 00000000DF5C: E05C1000 80957832
	v_mfma_f32_16x16x32_fp8_fp8 v[180:183], a[194:195], a[26:27], v[180:183]// 00000000DF64: D3F300B4 1ED235C2
	v_mfma_f32_16x16x32_fp8_fp8 v[180:183], a[196:197], a[28:29], v[180:183]// 00000000DF6C: D3F300B4 1ED239C4
	ds_read_b128 a[16:19], v2 offset:1024                      // 00000000DF74: DBFE0400 10000002
	ds_read_b128 a[20:23], v2 offset:1088                      // 00000000DF7C: DBFE0440 14000002
	v_mfma_f32_16x16x32_fp8_fp8 v[180:183], a[198:199], a[30:31], v[180:183]// 00000000DF84: D3F300B4 1ED23DC6
	v_mfma_f32_16x16x32_fp8_fp8 v[192:195], a[200:201], a[24:25], v[192:195]// 00000000DF8C: D3F300C0 1F0231C8
	buffer_load_dwordx4 a[124:127], v50, s[84:87], 0 offen offset:1024// 00000000DF94: E05C1400 80957C32
	v_mfma_f32_16x16x32_fp8_fp8 v[192:195], a[202:203], a[26:27], v[192:195]// 00000000DF9C: D3F300C0 1F0235CA
	v_mfma_f32_16x16x32_fp8_fp8 v[192:195], a[204:205], a[28:29], v[192:195]// 00000000DFA4: D3F300C0 1F0239CC
	v_mfma_f32_16x16x32_fp8_fp8 v[192:195], a[206:207], a[30:31], v[192:195]// 00000000DFAC: D3F300C0 1F023DCE
	v_mfma_f32_16x16x32_fp8_fp8 v[204:207], a[208:209], a[24:25], v[204:207]// 00000000DFB4: D3F300CC 1F3231D0
	buffer_load_dwordx4 a[128:131], v51, s[84:87], 0 offen     // 00000000DFBC: E05C1000 80958033
	v_mfma_f32_16x16x32_fp8_fp8 v[204:207], a[210:211], a[26:27], v[204:207]// 00000000DFC4: D3F300CC 1F3235D2
	v_mfma_f32_16x16x32_fp8_fp8 v[204:207], a[212:213], a[28:29], v[204:207]// 00000000DFCC: D3F300CC 1F3239D4
	v_mfma_f32_16x16x32_fp8_fp8 v[204:207], a[214:215], a[30:31], v[204:207]// 00000000DFD4: D3F300CC 1F323DD6
	v_mfma_f32_16x16x32_fp8_fp8 v[216:219], a[216:217], a[24:25], v[216:219]// 00000000DFDC: D3F300D8 1F6231D8
	buffer_load_dwordx4 a[132:135], v51, s[84:87], 0 offen offset:1024// 00000000DFE4: E05C1400 80958433
	v_mfma_f32_16x16x32_fp8_fp8 v[216:219], a[218:219], a[26:27], v[216:219]// 00000000DFEC: D3F300D8 1F6235DA
	v_mfma_f32_16x16x32_fp8_fp8 v[216:219], a[220:221], a[28:29], v[216:219]// 00000000DFF4: D3F300D8 1F6239DC
	v_mfma_f32_16x16x32_fp8_fp8 v[216:219], a[222:223], a[30:31], v[216:219]// 00000000DFFC: D3F300D8 1F623DDE
	v_mfma_f32_16x16x32_fp8_fp8 v[228:231], a[224:225], a[24:25], v[228:231]// 00000000E004: D3F300E4 1F9231E0
	buffer_load_dwordx4 a[136:139], v52, s[84:87], 0 offen     // 00000000E00C: E05C1000 80958834
	v_mfma_f32_16x16x32_fp8_fp8 v[228:231], a[226:227], a[26:27], v[228:231]// 00000000E014: D3F300E4 1F9235E2
	v_mfma_f32_16x16x32_fp8_fp8 v[228:231], a[228:229], a[28:29], v[228:231]// 00000000E01C: D3F300E4 1F9239E4
	v_mfma_f32_16x16x32_fp8_fp8 v[228:231], a[230:231], a[30:31], v[228:231]// 00000000E024: D3F300E4 1F923DE6
	v_mfma_f32_16x16x32_fp8_fp8 v[240:243], a[232:233], a[24:25], v[240:243]// 00000000E02C: D3F300F0 1FC231E8
	buffer_load_dwordx4 a[140:143], v52, s[84:87], 0 offen offset:1024// 00000000E034: E05C1400 80958C34
	v_mfma_f32_16x16x32_fp8_fp8 v[240:243], a[234:235], a[26:27], v[240:243]// 00000000E03C: D3F300F0 1FC235EA
	v_mfma_f32_16x16x32_fp8_fp8 v[240:243], a[236:237], a[28:29], v[240:243]// 00000000E044: D3F300F0 1FC239EC
	v_mfma_f32_16x16x32_fp8_fp8 v[240:243], a[238:239], a[30:31], v[240:243]// 00000000E04C: D3F300F0 1FC23DEE
	v_mfma_f32_16x16x32_fp8_fp8 v[160:163], a[176:177], a[32:33], v[160:163]// 00000000E054: D3F300A0 1E8241B0
	buffer_load_dwordx4 a[144:147], v53, s[84:87], 0 offen     // 00000000E05C: E05C1000 80959035
	v_mfma_f32_16x16x32_fp8_fp8 v[160:163], a[178:179], a[34:35], v[160:163]// 00000000E064: D3F300A0 1E8245B2
	v_mfma_f32_16x16x32_fp8_fp8 v[160:163], a[180:181], a[36:37], v[160:163]// 00000000E06C: D3F300A0 1E8249B4
	v_mfma_f32_16x16x32_fp8_fp8 v[160:163], a[182:183], a[38:39], v[160:163]// 00000000E074: D3F300A0 1E824DB6
	v_mfma_f32_16x16x32_fp8_fp8 v[172:175], a[184:185], a[32:33], v[172:175]// 00000000E07C: D3F300AC 1EB241B8
	buffer_load_dwordx4 a[148:151], v53, s[84:87], 0 offen offset:1024// 00000000E084: E05C1400 80959435
	v_mfma_f32_16x16x32_fp8_fp8 v[172:175], a[186:187], a[34:35], v[172:175]// 00000000E08C: D3F300AC 1EB245BA
	v_mfma_f32_16x16x32_fp8_fp8 v[172:175], a[188:189], a[36:37], v[172:175]// 00000000E094: D3F300AC 1EB249BC
	v_mfma_f32_16x16x32_fp8_fp8 v[172:175], a[190:191], a[38:39], v[172:175]// 00000000E09C: D3F300AC 1EB24DBE
	v_mfma_f32_16x16x32_fp8_fp8 v[184:187], a[192:193], a[32:33], v[184:187]// 00000000E0A4: D3F300B8 1EE241C0
	buffer_load_dwordx4 a[152:155], v54, s[84:87], 0 offen     // 00000000E0AC: E05C1000 80959836
	v_mfma_f32_16x16x32_fp8_fp8 v[184:187], a[194:195], a[34:35], v[184:187]// 00000000E0B4: D3F300B8 1EE245C2
	v_mfma_f32_16x16x32_fp8_fp8 v[184:187], a[196:197], a[36:37], v[184:187]// 00000000E0BC: D3F300B8 1EE249C4
	v_mfma_f32_16x16x32_fp8_fp8 v[184:187], a[198:199], a[38:39], v[184:187]// 00000000E0C4: D3F300B8 1EE24DC6
	v_mfma_f32_16x16x32_fp8_fp8 v[196:199], a[200:201], a[32:33], v[196:199]// 00000000E0CC: D3F300C4 1F1241C8
	buffer_load_dwordx4 a[156:159], v54, s[84:87], 0 offen offset:1024// 00000000E0D4: E05C1400 80959C36
	v_mfma_f32_16x16x32_fp8_fp8 v[196:199], a[202:203], a[34:35], v[196:199]// 00000000E0DC: D3F300C4 1F1245CA
	v_mfma_f32_16x16x32_fp8_fp8 v[196:199], a[204:205], a[36:37], v[196:199]// 00000000E0E4: D3F300C4 1F1249CC
	v_mfma_f32_16x16x32_fp8_fp8 v[196:199], a[206:207], a[38:39], v[196:199]// 00000000E0EC: D3F300C4 1F124DCE
	v_mfma_f32_16x16x32_fp8_fp8 v[208:211], a[208:209], a[32:33], v[208:211]// 00000000E0F4: D3F300D0 1F4241D0
	buffer_load_dwordx4 a[160:163], v55, s[84:87], 0 offen     // 00000000E0FC: E05C1000 8095A037
	v_mfma_f32_16x16x32_fp8_fp8 v[208:211], a[210:211], a[34:35], v[208:211]// 00000000E104: D3F300D0 1F4245D2
	v_mfma_f32_16x16x32_fp8_fp8 v[208:211], a[212:213], a[36:37], v[208:211]// 00000000E10C: D3F300D0 1F4249D4
	v_mfma_f32_16x16x32_fp8_fp8 v[208:211], a[214:215], a[38:39], v[208:211]// 00000000E114: D3F300D0 1F424DD6
	v_mfma_f32_16x16x32_fp8_fp8 v[220:223], a[216:217], a[32:33], v[220:223]// 00000000E11C: D3F300DC 1F7241D8
	buffer_load_dwordx4 a[164:167], v55, s[84:87], 0 offen offset:1024// 00000000E124: E05C1400 8095A437
	v_mfma_f32_16x16x32_fp8_fp8 v[220:223], a[218:219], a[34:35], v[220:223]// 00000000E12C: D3F300DC 1F7245DA
	v_mfma_f32_16x16x32_fp8_fp8 v[220:223], a[220:221], a[36:37], v[220:223]// 00000000E134: D3F300DC 1F7249DC
	v_mfma_f32_16x16x32_fp8_fp8 v[220:223], a[222:223], a[38:39], v[220:223]// 00000000E13C: D3F300DC 1F724DDE
	v_mfma_f32_16x16x32_fp8_fp8 v[232:235], a[224:225], a[32:33], v[232:235]// 00000000E144: D3F300E8 1FA241E0
	buffer_load_dwordx4 a[168:171], v56, s[84:87], 0 offen     // 00000000E14C: E05C1000 8095A838
	v_mfma_f32_16x16x32_fp8_fp8 v[232:235], a[226:227], a[34:35], v[232:235]// 00000000E154: D3F300E8 1FA245E2
	v_mfma_f32_16x16x32_fp8_fp8 v[232:235], a[228:229], a[36:37], v[232:235]// 00000000E15C: D3F300E8 1FA249E4
	v_mfma_f32_16x16x32_fp8_fp8 v[232:235], a[230:231], a[38:39], v[232:235]// 00000000E164: D3F300E8 1FA24DE6
	v_mfma_f32_16x16x32_fp8_fp8 v[244:247], a[232:233], a[32:33], v[244:247]// 00000000E16C: D3F300F4 1FD241E8
	buffer_load_dwordx4 a[172:175], v56, s[84:87], 0 offen offset:1024// 00000000E174: E05C1400 8095AC38
	v_mfma_f32_16x16x32_fp8_fp8 v[244:247], a[234:235], a[34:35], v[244:247]// 00000000E17C: D3F300F4 1FD245EA
	v_mfma_f32_16x16x32_fp8_fp8 v[244:247], a[236:237], a[36:37], v[244:247]// 00000000E184: D3F300F4 1FD249EC
	v_mfma_f32_16x16x32_fp8_fp8 v[244:247], a[238:239], a[38:39], v[244:247]// 00000000E18C: D3F300F4 1FD24DEE
	v_mfma_f32_16x16x32_fp8_fp8 v[164:167], a[176:177], a[40:41], v[164:167]// 00000000E194: D3F300A4 1E9251B0
	v_mfma_f32_16x16x32_fp8_fp8 v[164:167], a[178:179], a[42:43], v[164:167]// 00000000E19C: D3F300A4 1E9255B2
	v_mfma_f32_16x16x32_fp8_fp8 v[164:167], a[180:181], a[44:45], v[164:167]// 00000000E1A4: D3F300A4 1E9259B4
	v_mfma_f32_16x16x32_fp8_fp8 v[164:167], a[182:183], a[46:47], v[164:167]// 00000000E1AC: D3F300A4 1E925DB6
	v_mfma_f32_16x16x32_fp8_fp8 v[176:179], a[184:185], a[40:41], v[176:179]// 00000000E1B4: D3F300B0 1EC251B8
	v_mfma_f32_16x16x32_fp8_fp8 v[176:179], a[186:187], a[42:43], v[176:179]// 00000000E1BC: D3F300B0 1EC255BA
	v_mfma_f32_16x16x32_fp8_fp8 v[176:179], a[188:189], a[44:45], v[176:179]// 00000000E1C4: D3F300B0 1EC259BC
	v_mfma_f32_16x16x32_fp8_fp8 v[176:179], a[190:191], a[46:47], v[176:179]// 00000000E1CC: D3F300B0 1EC25DBE
	v_mfma_f32_16x16x32_fp8_fp8 v[188:191], a[192:193], a[40:41], v[188:191]// 00000000E1D4: D3F300BC 1EF251C0
	v_mfma_f32_16x16x32_fp8_fp8 v[188:191], a[194:195], a[42:43], v[188:191]// 00000000E1DC: D3F300BC 1EF255C2
	v_mfma_f32_16x16x32_fp8_fp8 v[188:191], a[196:197], a[44:45], v[188:191]// 00000000E1E4: D3F300BC 1EF259C4
	v_mfma_f32_16x16x32_fp8_fp8 v[188:191], a[198:199], a[46:47], v[188:191]// 00000000E1EC: D3F300BC 1EF25DC6
	v_mfma_f32_16x16x32_fp8_fp8 v[200:203], a[200:201], a[40:41], v[200:203]// 00000000E1F4: D3F300C8 1F2251C8
	v_mfma_f32_16x16x32_fp8_fp8 v[200:203], a[202:203], a[42:43], v[200:203]// 00000000E1FC: D3F300C8 1F2255CA
	v_mfma_f32_16x16x32_fp8_fp8 v[200:203], a[204:205], a[44:45], v[200:203]// 00000000E204: D3F300C8 1F2259CC
	v_mfma_f32_16x16x32_fp8_fp8 v[200:203], a[206:207], a[46:47], v[200:203]// 00000000E20C: D3F300C8 1F225DCE
	v_mfma_f32_16x16x32_fp8_fp8 v[212:215], a[208:209], a[40:41], v[212:215]// 00000000E214: D3F300D4 1F5251D0
	v_mfma_f32_16x16x32_fp8_fp8 v[212:215], a[210:211], a[42:43], v[212:215]// 00000000E21C: D3F300D4 1F5255D2
	v_mfma_f32_16x16x32_fp8_fp8 v[212:215], a[212:213], a[44:45], v[212:215]// 00000000E224: D3F300D4 1F5259D4
	v_mfma_f32_16x16x32_fp8_fp8 v[212:215], a[214:215], a[46:47], v[212:215]// 00000000E22C: D3F300D4 1F525DD6
	v_mfma_f32_16x16x32_fp8_fp8 v[224:227], a[216:217], a[40:41], v[224:227]// 00000000E234: D3F300E0 1F8251D8
	v_mfma_f32_16x16x32_fp8_fp8 v[224:227], a[218:219], a[42:43], v[224:227]// 00000000E23C: D3F300E0 1F8255DA
	v_mfma_f32_16x16x32_fp8_fp8 v[224:227], a[220:221], a[44:45], v[224:227]// 00000000E244: D3F300E0 1F8259DC
	v_mfma_f32_16x16x32_fp8_fp8 v[224:227], a[222:223], a[46:47], v[224:227]// 00000000E24C: D3F300E0 1F825DDE
	v_mfma_f32_16x16x32_fp8_fp8 v[236:239], a[224:225], a[40:41], v[236:239]// 00000000E254: D3F300EC 1FB251E0
	s_add_u32 s60, 0x180, s80                                  // 00000000E25C: 803C50FF 00000180
	s_cmp_lt_u32 s60, s81                                      // 00000000E264: BF0A513C
	s_cselect_b32 s57, s57, 0                                  // 00000000E268: 85398039
	v_mfma_f32_16x16x32_fp8_fp8 v[236:239], a[226:227], a[42:43], v[236:239]// 00000000E26C: D3F300EC 1FB255E2
	s_add_u32 s60, 0x100, s80                                  // 00000000E274: 803C50FF 00000100
	s_cmp_lt_u32 s60, s81                                      // 00000000E27C: BF0A513C
	s_cselect_b32 s58, s58, 0                                  // 00000000E280: 853A803A
	v_mfma_f32_16x16x32_fp8_fp8 v[236:239], a[228:229], a[44:45], v[236:239]// 00000000E284: D3F300EC 1FB259E4
	s_add_u32 s60, 0x100, s80                                  // 00000000E28C: 803C50FF 00000100
	s_cmp_lt_u32 s60, s81                                      // 00000000E294: BF0A513C
	s_cselect_b32 s83, s83, 0                                  // 00000000E298: 85538053
	v_mfma_f32_16x16x32_fp8_fp8 v[236:239], a[230:231], a[46:47], v[236:239]// 00000000E29C: D3F300EC 1FB25DE6
	s_add_u32 s24, s58, s24                                    // 00000000E2A4: 8018183A
	s_addc_u32 s25, 0, s25                                     // 00000000E2A8: 82191980
	v_mfma_f32_16x16x32_fp8_fp8 v[248:251], a[232:233], a[40:41], v[248:251]// 00000000E2AC: D3F300F8 1FE251E8
	s_add_u32 s20, s57, s20                                    // 00000000E2B4: 80141439
	s_addc_u32 s21, 0, s21                                     // 00000000E2B8: 82151580
	v_mfma_f32_16x16x32_fp8_fp8 v[248:251], a[234:235], a[42:43], v[248:251]// 00000000E2BC: D3F300F8 1FE255EA
	s_add_u32 s84, s83, s84                                    // 00000000E2C4: 80545453
	s_addc_u32 s85, 0, s85                                     // 00000000E2C8: 82555580
	v_mfma_f32_16x16x32_fp8_fp8 v[248:251], a[236:237], a[44:45], v[248:251]// 00000000E2CC: D3F300F8 1FE259EC
	v_mfma_f32_16x16x32_fp8_fp8 v[248:251], a[238:239], a[46:47], v[248:251]// 00000000E2D4: D3F300F8 1FE25DEE
	s_addk_i32 s80, 0x80                                       // 00000000E2DC: B7500080
	s_cmp_lt_i32 s80, s81                                      // 00000000E2E0: BF045150
	s_cbranch_scc0 label_2E3E                                  // 00000000E2E4: BF840001
	s_branch label_225B                                        // 00000000E2E8: BF82F41D

000000000000e2ec <label_2E3E>:
	v_mul_f32_dpp v60, v25, v60 row_newbcast:0 row_mask:0xf bank_mask:0xf// 00000000E2EC: 0A7878FA FF015019
	v_mul_f32_dpp v61, v25, v61 row_newbcast:1 row_mask:0xf bank_mask:0xf// 00000000E2F4: 0A7A7AFA FF015119
	v_mul_f32_dpp v62, v25, v62 row_newbcast:2 row_mask:0xf bank_mask:0xf// 00000000E2FC: 0A7C7CFA FF015219
	v_mul_f32_dpp v63, v25, v63 row_newbcast:3 row_mask:0xf bank_mask:0xf// 00000000E304: 0A7E7EFA FF015319
	v_mul_f32_dpp v64, v25, v64 row_newbcast:0 row_mask:0xf bank_mask:0xf// 00000000E30C: 0A8080FA FF015019
	v_mul_f32_dpp v65, v25, v65 row_newbcast:1 row_mask:0xf bank_mask:0xf// 00000000E314: 0A8282FA FF015119
	v_mul_f32_dpp v66, v25, v66 row_newbcast:2 row_mask:0xf bank_mask:0xf// 00000000E31C: 0A8484FA FF015219
	v_mul_f32_dpp v67, v25, v67 row_newbcast:3 row_mask:0xf bank_mask:0xf// 00000000E324: 0A8686FA FF015319
	v_mul_f32_dpp v68, v25, v68 row_newbcast:0 row_mask:0xf bank_mask:0xf// 00000000E32C: 0A8888FA FF015019
	v_mul_f32_dpp v69, v25, v69 row_newbcast:1 row_mask:0xf bank_mask:0xf// 00000000E334: 0A8A8AFA FF015119
	v_mul_f32_dpp v70, v25, v70 row_newbcast:2 row_mask:0xf bank_mask:0xf// 00000000E33C: 0A8C8CFA FF015219
	v_mul_f32_dpp v71, v25, v71 row_newbcast:3 row_mask:0xf bank_mask:0xf// 00000000E344: 0A8E8EFA FF015319
	v_mul_f32_dpp v72, v25, v72 row_newbcast:4 row_mask:0xf bank_mask:0xf// 00000000E34C: 0A9090FA FF015419
	v_mul_f32_dpp v73, v25, v73 row_newbcast:5 row_mask:0xf bank_mask:0xf// 00000000E354: 0A9292FA FF015519
	v_mul_f32_dpp v74, v25, v74 row_newbcast:6 row_mask:0xf bank_mask:0xf// 00000000E35C: 0A9494FA FF015619
	v_mul_f32_dpp v75, v25, v75 row_newbcast:7 row_mask:0xf bank_mask:0xf// 00000000E364: 0A9696FA FF015719
	v_mul_f32_dpp v76, v25, v76 row_newbcast:4 row_mask:0xf bank_mask:0xf// 00000000E36C: 0A9898FA FF015419
	v_mul_f32_dpp v77, v25, v77 row_newbcast:5 row_mask:0xf bank_mask:0xf// 00000000E374: 0A9A9AFA FF015519
	v_mul_f32_dpp v78, v25, v78 row_newbcast:6 row_mask:0xf bank_mask:0xf// 00000000E37C: 0A9C9CFA FF015619
	v_mul_f32_dpp v79, v25, v79 row_newbcast:7 row_mask:0xf bank_mask:0xf// 00000000E384: 0A9E9EFA FF015719
	v_mul_f32_dpp v80, v25, v80 row_newbcast:4 row_mask:0xf bank_mask:0xf// 00000000E38C: 0AA0A0FA FF015419
	v_mul_f32_dpp v81, v25, v81 row_newbcast:5 row_mask:0xf bank_mask:0xf// 00000000E394: 0AA2A2FA FF015519
	v_mul_f32_dpp v82, v25, v82 row_newbcast:6 row_mask:0xf bank_mask:0xf// 00000000E39C: 0AA4A4FA FF015619
	v_mul_f32_dpp v83, v25, v83 row_newbcast:7 row_mask:0xf bank_mask:0xf// 00000000E3A4: 0AA6A6FA FF015719
	v_mul_f32_dpp v84, v25, v84 row_newbcast:8 row_mask:0xf bank_mask:0xf// 00000000E3AC: 0AA8A8FA FF015819
	v_mul_f32_dpp v85, v25, v85 row_newbcast:9 row_mask:0xf bank_mask:0xf// 00000000E3B4: 0AAAAAFA FF015919
	v_mul_f32_dpp v86, v25, v86 row_newbcast:10 row_mask:0xf bank_mask:0xf// 00000000E3BC: 0AACACFA FF015A19
	v_mul_f32_dpp v87, v25, v87 row_newbcast:11 row_mask:0xf bank_mask:0xf// 00000000E3C4: 0AAEAEFA FF015B19
	v_mul_f32_dpp v88, v25, v88 row_newbcast:8 row_mask:0xf bank_mask:0xf// 00000000E3CC: 0AB0B0FA FF015819
	v_mul_f32_dpp v89, v25, v89 row_newbcast:9 row_mask:0xf bank_mask:0xf// 00000000E3D4: 0AB2B2FA FF015919
	v_mul_f32_dpp v90, v25, v90 row_newbcast:10 row_mask:0xf bank_mask:0xf// 00000000E3DC: 0AB4B4FA FF015A19
	v_mul_f32_dpp v91, v25, v91 row_newbcast:11 row_mask:0xf bank_mask:0xf// 00000000E3E4: 0AB6B6FA FF015B19
	v_mul_f32_dpp v92, v25, v92 row_newbcast:8 row_mask:0xf bank_mask:0xf// 00000000E3EC: 0AB8B8FA FF015819
	v_mul_f32_dpp v93, v25, v93 row_newbcast:9 row_mask:0xf bank_mask:0xf// 00000000E3F4: 0ABABAFA FF015919
	v_mul_f32_dpp v94, v25, v94 row_newbcast:10 row_mask:0xf bank_mask:0xf// 00000000E3FC: 0ABCBCFA FF015A19
	v_mul_f32_dpp v95, v25, v95 row_newbcast:11 row_mask:0xf bank_mask:0xf// 00000000E404: 0ABEBEFA FF015B19
	v_mul_f32_dpp v96, v25, v96 row_newbcast:12 row_mask:0xf bank_mask:0xf// 00000000E40C: 0AC0C0FA FF015C19
	v_mul_f32_dpp v97, v25, v97 row_newbcast:13 row_mask:0xf bank_mask:0xf// 00000000E414: 0AC2C2FA FF015D19
	v_mul_f32_dpp v98, v25, v98 row_newbcast:14 row_mask:0xf bank_mask:0xf// 00000000E41C: 0AC4C4FA FF015E19
	v_mul_f32_dpp v99, v25, v99 row_newbcast:15 row_mask:0xf bank_mask:0xf// 00000000E424: 0AC6C6FA FF015F19
	v_mul_f32_dpp v100, v25, v100 row_newbcast:12 row_mask:0xf bank_mask:0xf// 00000000E42C: 0AC8C8FA FF015C19
	v_mul_f32_dpp v101, v25, v101 row_newbcast:13 row_mask:0xf bank_mask:0xf// 00000000E434: 0ACACAFA FF015D19
	v_mul_f32_dpp v102, v25, v102 row_newbcast:14 row_mask:0xf bank_mask:0xf// 00000000E43C: 0ACCCCFA FF015E19
	v_mul_f32_dpp v103, v25, v103 row_newbcast:15 row_mask:0xf bank_mask:0xf// 00000000E444: 0ACECEFA FF015F19
	v_mul_f32_dpp v104, v25, v104 row_newbcast:12 row_mask:0xf bank_mask:0xf// 00000000E44C: 0AD0D0FA FF015C19
	v_mul_f32_dpp v105, v25, v105 row_newbcast:13 row_mask:0xf bank_mask:0xf// 00000000E454: 0AD2D2FA FF015D19
	v_mul_f32_dpp v106, v25, v106 row_newbcast:14 row_mask:0xf bank_mask:0xf// 00000000E45C: 0AD4D4FA FF015E19
	v_mul_f32_dpp v107, v25, v107 row_newbcast:15 row_mask:0xf bank_mask:0xf// 00000000E464: 0AD6D6FA FF015F19
	v_mul_f32_dpp v108, v26, v108 row_newbcast:0 row_mask:0xf bank_mask:0xf// 00000000E46C: 0AD8D8FA FF01501A
	v_mul_f32_dpp v109, v26, v109 row_newbcast:1 row_mask:0xf bank_mask:0xf// 00000000E474: 0ADADAFA FF01511A
	v_mul_f32_dpp v110, v26, v110 row_newbcast:2 row_mask:0xf bank_mask:0xf// 00000000E47C: 0ADCDCFA FF01521A
	v_mul_f32_dpp v111, v26, v111 row_newbcast:3 row_mask:0xf bank_mask:0xf// 00000000E484: 0ADEDEFA FF01531A
	v_mul_f32_dpp v112, v26, v112 row_newbcast:0 row_mask:0xf bank_mask:0xf// 00000000E48C: 0AE0E0FA FF01501A
	v_mul_f32_dpp v113, v26, v113 row_newbcast:1 row_mask:0xf bank_mask:0xf// 00000000E494: 0AE2E2FA FF01511A
	v_mul_f32_dpp v114, v26, v114 row_newbcast:2 row_mask:0xf bank_mask:0xf// 00000000E49C: 0AE4E4FA FF01521A
	v_mul_f32_dpp v115, v26, v115 row_newbcast:3 row_mask:0xf bank_mask:0xf// 00000000E4A4: 0AE6E6FA FF01531A
	v_mul_f32_dpp v116, v26, v116 row_newbcast:0 row_mask:0xf bank_mask:0xf// 00000000E4AC: 0AE8E8FA FF01501A
	v_mul_f32_dpp v117, v26, v117 row_newbcast:1 row_mask:0xf bank_mask:0xf// 00000000E4B4: 0AEAEAFA FF01511A
	v_mul_f32_dpp v118, v26, v118 row_newbcast:2 row_mask:0xf bank_mask:0xf// 00000000E4BC: 0AECECFA FF01521A
	v_mul_f32_dpp v119, v26, v119 row_newbcast:3 row_mask:0xf bank_mask:0xf// 00000000E4C4: 0AEEEEFA FF01531A
	v_mul_f32_dpp v120, v26, v120 row_newbcast:4 row_mask:0xf bank_mask:0xf// 00000000E4CC: 0AF0F0FA FF01541A
	v_mul_f32_dpp v121, v26, v121 row_newbcast:5 row_mask:0xf bank_mask:0xf// 00000000E4D4: 0AF2F2FA FF01551A
	v_mul_f32_dpp v122, v26, v122 row_newbcast:6 row_mask:0xf bank_mask:0xf// 00000000E4DC: 0AF4F4FA FF01561A
	v_mul_f32_dpp v123, v26, v123 row_newbcast:7 row_mask:0xf bank_mask:0xf// 00000000E4E4: 0AF6F6FA FF01571A
	v_mul_f32_dpp v124, v26, v124 row_newbcast:4 row_mask:0xf bank_mask:0xf// 00000000E4EC: 0AF8F8FA FF01541A
	v_mul_f32_dpp v125, v26, v125 row_newbcast:5 row_mask:0xf bank_mask:0xf// 00000000E4F4: 0AFAFAFA FF01551A
	v_mul_f32_dpp v126, v26, v126 row_newbcast:6 row_mask:0xf bank_mask:0xf// 00000000E4FC: 0AFCFCFA FF01561A
	v_mul_f32_dpp v127, v26, v127 row_newbcast:7 row_mask:0xf bank_mask:0xf// 00000000E504: 0AFEFEFA FF01571A
	v_mul_f32_dpp v128, v26, v128 row_newbcast:4 row_mask:0xf bank_mask:0xf// 00000000E50C: 0B0100FA FF01541A
	v_mul_f32_dpp v129, v26, v129 row_newbcast:5 row_mask:0xf bank_mask:0xf// 00000000E514: 0B0302FA FF01551A
	v_mul_f32_dpp v130, v26, v130 row_newbcast:6 row_mask:0xf bank_mask:0xf// 00000000E51C: 0B0504FA FF01561A
	v_mul_f32_dpp v131, v26, v131 row_newbcast:7 row_mask:0xf bank_mask:0xf// 00000000E524: 0B0706FA FF01571A
	v_mul_f32_dpp v132, v26, v132 row_newbcast:8 row_mask:0xf bank_mask:0xf// 00000000E52C: 0B0908FA FF01581A
	v_mul_f32_dpp v133, v26, v133 row_newbcast:9 row_mask:0xf bank_mask:0xf// 00000000E534: 0B0B0AFA FF01591A
	v_mul_f32_dpp v134, v26, v134 row_newbcast:10 row_mask:0xf bank_mask:0xf// 00000000E53C: 0B0D0CFA FF015A1A
	v_mul_f32_dpp v135, v26, v135 row_newbcast:11 row_mask:0xf bank_mask:0xf// 00000000E544: 0B0F0EFA FF015B1A
	v_mul_f32_dpp v136, v26, v136 row_newbcast:8 row_mask:0xf bank_mask:0xf// 00000000E54C: 0B1110FA FF01581A
	v_mul_f32_dpp v137, v26, v137 row_newbcast:9 row_mask:0xf bank_mask:0xf// 00000000E554: 0B1312FA FF01591A
	v_mul_f32_dpp v138, v26, v138 row_newbcast:10 row_mask:0xf bank_mask:0xf// 00000000E55C: 0B1514FA FF015A1A
	v_mul_f32_dpp v139, v26, v139 row_newbcast:11 row_mask:0xf bank_mask:0xf// 00000000E564: 0B1716FA FF015B1A
	v_mul_f32_dpp v140, v26, v140 row_newbcast:8 row_mask:0xf bank_mask:0xf// 00000000E56C: 0B1918FA FF01581A
	v_mul_f32_dpp v141, v26, v141 row_newbcast:9 row_mask:0xf bank_mask:0xf// 00000000E574: 0B1B1AFA FF01591A
	v_mul_f32_dpp v142, v26, v142 row_newbcast:10 row_mask:0xf bank_mask:0xf// 00000000E57C: 0B1D1CFA FF015A1A
	v_mul_f32_dpp v143, v26, v143 row_newbcast:11 row_mask:0xf bank_mask:0xf// 00000000E584: 0B1F1EFA FF015B1A
	v_mul_f32_dpp v144, v26, v144 row_newbcast:12 row_mask:0xf bank_mask:0xf// 00000000E58C: 0B2120FA FF015C1A
	v_mul_f32_dpp v145, v26, v145 row_newbcast:13 row_mask:0xf bank_mask:0xf// 00000000E594: 0B2322FA FF015D1A
	v_mul_f32_dpp v146, v26, v146 row_newbcast:14 row_mask:0xf bank_mask:0xf// 00000000E59C: 0B2524FA FF015E1A
	v_mul_f32_dpp v147, v26, v147 row_newbcast:15 row_mask:0xf bank_mask:0xf// 00000000E5A4: 0B2726FA FF015F1A
	v_mul_f32_dpp v148, v26, v148 row_newbcast:12 row_mask:0xf bank_mask:0xf// 00000000E5AC: 0B2928FA FF015C1A
	v_mul_f32_dpp v149, v26, v149 row_newbcast:13 row_mask:0xf bank_mask:0xf// 00000000E5B4: 0B2B2AFA FF015D1A
	v_mul_f32_dpp v150, v26, v150 row_newbcast:14 row_mask:0xf bank_mask:0xf// 00000000E5BC: 0B2D2CFA FF015E1A
	v_mul_f32_dpp v151, v26, v151 row_newbcast:15 row_mask:0xf bank_mask:0xf// 00000000E5C4: 0B2F2EFA FF015F1A
	v_mul_f32_dpp v152, v26, v152 row_newbcast:12 row_mask:0xf bank_mask:0xf// 00000000E5CC: 0B3130FA FF015C1A
	v_mul_f32_dpp v153, v26, v153 row_newbcast:13 row_mask:0xf bank_mask:0xf// 00000000E5D4: 0B3332FA FF015D1A
	v_mul_f32_dpp v154, v26, v154 row_newbcast:14 row_mask:0xf bank_mask:0xf// 00000000E5DC: 0B3534FA FF015E1A
	v_mul_f32_dpp v155, v26, v155 row_newbcast:15 row_mask:0xf bank_mask:0xf// 00000000E5E4: 0B3736FA FF015F1A
	v_mul_f32_dpp v156, v28, v156 row_newbcast:0 row_mask:0xf bank_mask:0xf// 00000000E5EC: 0B3938FA FF01501C
	v_mul_f32_dpp v157, v28, v157 row_newbcast:1 row_mask:0xf bank_mask:0xf// 00000000E5F4: 0B3B3AFA FF01511C
	v_mul_f32_dpp v158, v28, v158 row_newbcast:2 row_mask:0xf bank_mask:0xf// 00000000E5FC: 0B3D3CFA FF01521C
	v_mul_f32_dpp v159, v28, v159 row_newbcast:3 row_mask:0xf bank_mask:0xf// 00000000E604: 0B3F3EFA FF01531C
	v_mul_f32_dpp v160, v28, v160 row_newbcast:0 row_mask:0xf bank_mask:0xf// 00000000E60C: 0B4140FA FF01501C
	v_mul_f32_dpp v161, v28, v161 row_newbcast:1 row_mask:0xf bank_mask:0xf// 00000000E614: 0B4342FA FF01511C
	v_mul_f32_dpp v162, v28, v162 row_newbcast:2 row_mask:0xf bank_mask:0xf// 00000000E61C: 0B4544FA FF01521C
	v_mul_f32_dpp v163, v28, v163 row_newbcast:3 row_mask:0xf bank_mask:0xf// 00000000E624: 0B4746FA FF01531C
	v_mul_f32_dpp v164, v28, v164 row_newbcast:0 row_mask:0xf bank_mask:0xf// 00000000E62C: 0B4948FA FF01501C
	v_mul_f32_dpp v165, v28, v165 row_newbcast:1 row_mask:0xf bank_mask:0xf// 00000000E634: 0B4B4AFA FF01511C
	v_mul_f32_dpp v166, v28, v166 row_newbcast:2 row_mask:0xf bank_mask:0xf// 00000000E63C: 0B4D4CFA FF01521C
	v_mul_f32_dpp v167, v28, v167 row_newbcast:3 row_mask:0xf bank_mask:0xf// 00000000E644: 0B4F4EFA FF01531C
	v_mul_f32_dpp v168, v28, v168 row_newbcast:4 row_mask:0xf bank_mask:0xf// 00000000E64C: 0B5150FA FF01541C
	v_mul_f32_dpp v169, v28, v169 row_newbcast:5 row_mask:0xf bank_mask:0xf// 00000000E654: 0B5352FA FF01551C
	v_mul_f32_dpp v170, v28, v170 row_newbcast:6 row_mask:0xf bank_mask:0xf// 00000000E65C: 0B5554FA FF01561C
	v_mul_f32_dpp v171, v28, v171 row_newbcast:7 row_mask:0xf bank_mask:0xf// 00000000E664: 0B5756FA FF01571C
	v_mul_f32_dpp v172, v28, v172 row_newbcast:4 row_mask:0xf bank_mask:0xf// 00000000E66C: 0B5958FA FF01541C
	v_mul_f32_dpp v173, v28, v173 row_newbcast:5 row_mask:0xf bank_mask:0xf// 00000000E674: 0B5B5AFA FF01551C
	v_mul_f32_dpp v174, v28, v174 row_newbcast:6 row_mask:0xf bank_mask:0xf// 00000000E67C: 0B5D5CFA FF01561C
	v_mul_f32_dpp v175, v28, v175 row_newbcast:7 row_mask:0xf bank_mask:0xf// 00000000E684: 0B5F5EFA FF01571C
	v_mul_f32_dpp v176, v28, v176 row_newbcast:4 row_mask:0xf bank_mask:0xf// 00000000E68C: 0B6160FA FF01541C
	v_mul_f32_dpp v177, v28, v177 row_newbcast:5 row_mask:0xf bank_mask:0xf// 00000000E694: 0B6362FA FF01551C
	v_mul_f32_dpp v178, v28, v178 row_newbcast:6 row_mask:0xf bank_mask:0xf// 00000000E69C: 0B6564FA FF01561C
	v_mul_f32_dpp v179, v28, v179 row_newbcast:7 row_mask:0xf bank_mask:0xf// 00000000E6A4: 0B6766FA FF01571C
	v_mul_f32_dpp v180, v28, v180 row_newbcast:8 row_mask:0xf bank_mask:0xf// 00000000E6AC: 0B6968FA FF01581C
	v_mul_f32_dpp v181, v28, v181 row_newbcast:9 row_mask:0xf bank_mask:0xf// 00000000E6B4: 0B6B6AFA FF01591C
	v_mul_f32_dpp v182, v28, v182 row_newbcast:10 row_mask:0xf bank_mask:0xf// 00000000E6BC: 0B6D6CFA FF015A1C
	v_mul_f32_dpp v183, v28, v183 row_newbcast:11 row_mask:0xf bank_mask:0xf// 00000000E6C4: 0B6F6EFA FF015B1C
	v_mul_f32_dpp v184, v28, v184 row_newbcast:8 row_mask:0xf bank_mask:0xf// 00000000E6CC: 0B7170FA FF01581C
	v_mul_f32_dpp v185, v28, v185 row_newbcast:9 row_mask:0xf bank_mask:0xf// 00000000E6D4: 0B7372FA FF01591C
	v_mul_f32_dpp v186, v28, v186 row_newbcast:10 row_mask:0xf bank_mask:0xf// 00000000E6DC: 0B7574FA FF015A1C
	v_mul_f32_dpp v187, v28, v187 row_newbcast:11 row_mask:0xf bank_mask:0xf// 00000000E6E4: 0B7776FA FF015B1C
	v_mul_f32_dpp v188, v28, v188 row_newbcast:8 row_mask:0xf bank_mask:0xf// 00000000E6EC: 0B7978FA FF01581C
	v_mul_f32_dpp v189, v28, v189 row_newbcast:9 row_mask:0xf bank_mask:0xf// 00000000E6F4: 0B7B7AFA FF01591C
	v_mul_f32_dpp v190, v28, v190 row_newbcast:10 row_mask:0xf bank_mask:0xf// 00000000E6FC: 0B7D7CFA FF015A1C
	v_mul_f32_dpp v191, v28, v191 row_newbcast:11 row_mask:0xf bank_mask:0xf// 00000000E704: 0B7F7EFA FF015B1C
	v_mul_f32_dpp v192, v28, v192 row_newbcast:12 row_mask:0xf bank_mask:0xf// 00000000E70C: 0B8180FA FF015C1C
	v_mul_f32_dpp v193, v28, v193 row_newbcast:13 row_mask:0xf bank_mask:0xf// 00000000E714: 0B8382FA FF015D1C
	v_mul_f32_dpp v194, v28, v194 row_newbcast:14 row_mask:0xf bank_mask:0xf// 00000000E71C: 0B8584FA FF015E1C
	v_mul_f32_dpp v195, v28, v195 row_newbcast:15 row_mask:0xf bank_mask:0xf// 00000000E724: 0B8786FA FF015F1C
	v_mul_f32_dpp v196, v28, v196 row_newbcast:12 row_mask:0xf bank_mask:0xf// 00000000E72C: 0B8988FA FF015C1C
	v_mul_f32_dpp v197, v28, v197 row_newbcast:13 row_mask:0xf bank_mask:0xf// 00000000E734: 0B8B8AFA FF015D1C
	v_mul_f32_dpp v198, v28, v198 row_newbcast:14 row_mask:0xf bank_mask:0xf// 00000000E73C: 0B8D8CFA FF015E1C
	v_mul_f32_dpp v199, v28, v199 row_newbcast:15 row_mask:0xf bank_mask:0xf// 00000000E744: 0B8F8EFA FF015F1C
	v_mul_f32_dpp v200, v28, v200 row_newbcast:12 row_mask:0xf bank_mask:0xf// 00000000E74C: 0B9190FA FF015C1C
	v_mul_f32_dpp v201, v28, v201 row_newbcast:13 row_mask:0xf bank_mask:0xf// 00000000E754: 0B9392FA FF015D1C
	v_mul_f32_dpp v202, v28, v202 row_newbcast:14 row_mask:0xf bank_mask:0xf// 00000000E75C: 0B9594FA FF015E1C
	v_mul_f32_dpp v203, v28, v203 row_newbcast:15 row_mask:0xf bank_mask:0xf// 00000000E764: 0B9796FA FF015F1C
	v_mul_f32_dpp v204, v29, v204 row_newbcast:0 row_mask:0xf bank_mask:0xf// 00000000E76C: 0B9998FA FF01501D
	v_mul_f32_dpp v205, v29, v205 row_newbcast:1 row_mask:0xf bank_mask:0xf// 00000000E774: 0B9B9AFA FF01511D
	v_mul_f32_dpp v206, v29, v206 row_newbcast:2 row_mask:0xf bank_mask:0xf// 00000000E77C: 0B9D9CFA FF01521D
	v_mul_f32_dpp v207, v29, v207 row_newbcast:3 row_mask:0xf bank_mask:0xf// 00000000E784: 0B9F9EFA FF01531D
	v_mul_f32_dpp v208, v29, v208 row_newbcast:0 row_mask:0xf bank_mask:0xf// 00000000E78C: 0BA1A0FA FF01501D
	v_mul_f32_dpp v209, v29, v209 row_newbcast:1 row_mask:0xf bank_mask:0xf// 00000000E794: 0BA3A2FA FF01511D
	v_mul_f32_dpp v210, v29, v210 row_newbcast:2 row_mask:0xf bank_mask:0xf// 00000000E79C: 0BA5A4FA FF01521D
	v_mul_f32_dpp v211, v29, v211 row_newbcast:3 row_mask:0xf bank_mask:0xf// 00000000E7A4: 0BA7A6FA FF01531D
	v_mul_f32_dpp v212, v29, v212 row_newbcast:0 row_mask:0xf bank_mask:0xf// 00000000E7AC: 0BA9A8FA FF01501D
	v_mul_f32_dpp v213, v29, v213 row_newbcast:1 row_mask:0xf bank_mask:0xf// 00000000E7B4: 0BABAAFA FF01511D
	v_mul_f32_dpp v214, v29, v214 row_newbcast:2 row_mask:0xf bank_mask:0xf// 00000000E7BC: 0BADACFA FF01521D
	v_mul_f32_dpp v215, v29, v215 row_newbcast:3 row_mask:0xf bank_mask:0xf// 00000000E7C4: 0BAFAEFA FF01531D
	v_mul_f32_dpp v216, v29, v216 row_newbcast:4 row_mask:0xf bank_mask:0xf// 00000000E7CC: 0BB1B0FA FF01541D
	v_mul_f32_dpp v217, v29, v217 row_newbcast:5 row_mask:0xf bank_mask:0xf// 00000000E7D4: 0BB3B2FA FF01551D
	v_mul_f32_dpp v218, v29, v218 row_newbcast:6 row_mask:0xf bank_mask:0xf// 00000000E7DC: 0BB5B4FA FF01561D
	v_mul_f32_dpp v219, v29, v219 row_newbcast:7 row_mask:0xf bank_mask:0xf// 00000000E7E4: 0BB7B6FA FF01571D
	v_mul_f32_dpp v220, v29, v220 row_newbcast:4 row_mask:0xf bank_mask:0xf// 00000000E7EC: 0BB9B8FA FF01541D
	v_mul_f32_dpp v221, v29, v221 row_newbcast:5 row_mask:0xf bank_mask:0xf// 00000000E7F4: 0BBBBAFA FF01551D
	v_mul_f32_dpp v222, v29, v222 row_newbcast:6 row_mask:0xf bank_mask:0xf// 00000000E7FC: 0BBDBCFA FF01561D
	v_mul_f32_dpp v223, v29, v223 row_newbcast:7 row_mask:0xf bank_mask:0xf// 00000000E804: 0BBFBEFA FF01571D
	v_mul_f32_dpp v224, v29, v224 row_newbcast:4 row_mask:0xf bank_mask:0xf// 00000000E80C: 0BC1C0FA FF01541D
	v_mul_f32_dpp v225, v29, v225 row_newbcast:5 row_mask:0xf bank_mask:0xf// 00000000E814: 0BC3C2FA FF01551D
	v_mul_f32_dpp v226, v29, v226 row_newbcast:6 row_mask:0xf bank_mask:0xf// 00000000E81C: 0BC5C4FA FF01561D
	v_mul_f32_dpp v227, v29, v227 row_newbcast:7 row_mask:0xf bank_mask:0xf// 00000000E824: 0BC7C6FA FF01571D
	v_mul_f32_dpp v228, v29, v228 row_newbcast:8 row_mask:0xf bank_mask:0xf// 00000000E82C: 0BC9C8FA FF01581D
	v_mul_f32_dpp v229, v29, v229 row_newbcast:9 row_mask:0xf bank_mask:0xf// 00000000E834: 0BCBCAFA FF01591D
	v_mul_f32_dpp v230, v29, v230 row_newbcast:10 row_mask:0xf bank_mask:0xf// 00000000E83C: 0BCDCCFA FF015A1D
	v_mul_f32_dpp v231, v29, v231 row_newbcast:11 row_mask:0xf bank_mask:0xf// 00000000E844: 0BCFCEFA FF015B1D
	v_mul_f32_dpp v232, v29, v232 row_newbcast:8 row_mask:0xf bank_mask:0xf// 00000000E84C: 0BD1D0FA FF01581D
	v_mul_f32_dpp v233, v29, v233 row_newbcast:9 row_mask:0xf bank_mask:0xf// 00000000E854: 0BD3D2FA FF01591D
	v_mul_f32_dpp v234, v29, v234 row_newbcast:10 row_mask:0xf bank_mask:0xf// 00000000E85C: 0BD5D4FA FF015A1D
	v_mul_f32_dpp v235, v29, v235 row_newbcast:11 row_mask:0xf bank_mask:0xf// 00000000E864: 0BD7D6FA FF015B1D
	v_mul_f32_dpp v236, v29, v236 row_newbcast:8 row_mask:0xf bank_mask:0xf// 00000000E86C: 0BD9D8FA FF01581D
	v_mul_f32_dpp v237, v29, v237 row_newbcast:9 row_mask:0xf bank_mask:0xf// 00000000E874: 0BDBDAFA FF01591D
	v_mul_f32_dpp v238, v29, v238 row_newbcast:10 row_mask:0xf bank_mask:0xf// 00000000E87C: 0BDDDCFA FF015A1D
	v_mul_f32_dpp v239, v29, v239 row_newbcast:11 row_mask:0xf bank_mask:0xf// 00000000E884: 0BDFDEFA FF015B1D
	v_mul_f32_dpp v240, v29, v240 row_newbcast:12 row_mask:0xf bank_mask:0xf// 00000000E88C: 0BE1E0FA FF015C1D
	v_mul_f32_dpp v241, v29, v241 row_newbcast:13 row_mask:0xf bank_mask:0xf// 00000000E894: 0BE3E2FA FF015D1D
	v_mul_f32_dpp v242, v29, v242 row_newbcast:14 row_mask:0xf bank_mask:0xf// 00000000E89C: 0BE5E4FA FF015E1D
	v_mul_f32_dpp v243, v29, v243 row_newbcast:15 row_mask:0xf bank_mask:0xf// 00000000E8A4: 0BE7E6FA FF015F1D
	v_mul_f32_dpp v244, v29, v244 row_newbcast:12 row_mask:0xf bank_mask:0xf// 00000000E8AC: 0BE9E8FA FF015C1D
	v_mul_f32_dpp v245, v29, v245 row_newbcast:13 row_mask:0xf bank_mask:0xf// 00000000E8B4: 0BEBEAFA FF015D1D
	v_mul_f32_dpp v246, v29, v246 row_newbcast:14 row_mask:0xf bank_mask:0xf// 00000000E8BC: 0BEDECFA FF015E1D
	v_mul_f32_dpp v247, v29, v247 row_newbcast:15 row_mask:0xf bank_mask:0xf// 00000000E8C4: 0BEFEEFA FF015F1D
	v_mul_f32_dpp v248, v29, v248 row_newbcast:12 row_mask:0xf bank_mask:0xf// 00000000E8CC: 0BF1F0FA FF015C1D
	v_mul_f32_dpp v249, v29, v249 row_newbcast:13 row_mask:0xf bank_mask:0xf// 00000000E8D4: 0BF3F2FA FF015D1D
	v_mul_f32_dpp v250, v29, v250 row_newbcast:14 row_mask:0xf bank_mask:0xf// 00000000E8DC: 0BF5F4FA FF015E1D
	v_mul_f32_dpp v251, v29, v251 row_newbcast:15 row_mask:0xf bank_mask:0xf// 00000000E8E4: 0BF7F6FA FF015F1D
	v_mov_b32_e32 v4, v34                                      // 00000000E8EC: 7E080322
	v_mov_b32_e32 v5, v4                                       // 00000000E8F0: 7E0A0304
	v_pk_mul_f32 v[60:61], v[4:5], v[60:61]                    // 00000000E8F4: D3B1403C 18027904
	v_pk_mul_f32 v[156:157], v[4:5], v[156:157]                // 00000000E8FC: D3B1409C 18033904
	v_pk_mul_f32 v[62:63], v[4:5], v[62:63]                    // 00000000E904: D3B1403E 18027D04
	v_pk_mul_f32 v[158:159], v[4:5], v[158:159]                // 00000000E90C: D3B1409E 18033D04
	v_pk_mul_f32 v[72:73], v[4:5], v[72:73]                    // 00000000E914: D3B14048 18029104
	v_pk_mul_f32 v[168:169], v[4:5], v[168:169]                // 00000000E91C: D3B140A8 18035104
	v_pk_mul_f32 v[74:75], v[4:5], v[74:75]                    // 00000000E924: D3B1404A 18029504
	v_pk_mul_f32 v[170:171], v[4:5], v[170:171]                // 00000000E92C: D3B140AA 18035504
	v_pk_mul_f32 v[84:85], v[4:5], v[84:85]                    // 00000000E934: D3B14054 1802A904
	v_pk_mul_f32 v[180:181], v[4:5], v[180:181]                // 00000000E93C: D3B140B4 18036904
	v_pk_mul_f32 v[86:87], v[4:5], v[86:87]                    // 00000000E944: D3B14056 1802AD04
	v_pk_mul_f32 v[182:183], v[4:5], v[182:183]                // 00000000E94C: D3B140B6 18036D04
	v_pk_mul_f32 v[96:97], v[4:5], v[96:97]                    // 00000000E954: D3B14060 1802C104
	v_pk_mul_f32 v[192:193], v[4:5], v[192:193]                // 00000000E95C: D3B140C0 18038104
	v_pk_mul_f32 v[98:99], v[4:5], v[98:99]                    // 00000000E964: D3B14062 1802C504
	v_pk_mul_f32 v[194:195], v[4:5], v[194:195]                // 00000000E96C: D3B140C2 18038504
	v_pk_mul_f32 v[108:109], v[4:5], v[108:109]                // 00000000E974: D3B1406C 1802D904
	v_pk_mul_f32 v[204:205], v[4:5], v[204:205]                // 00000000E97C: D3B140CC 18039904
	v_pk_mul_f32 v[110:111], v[4:5], v[110:111]                // 00000000E984: D3B1406E 1802DD04
	v_pk_mul_f32 v[206:207], v[4:5], v[206:207]                // 00000000E98C: D3B140CE 18039D04
	v_pk_mul_f32 v[120:121], v[4:5], v[120:121]                // 00000000E994: D3B14078 1802F104
	v_pk_mul_f32 v[216:217], v[4:5], v[216:217]                // 00000000E99C: D3B140D8 1803B104
	v_pk_mul_f32 v[122:123], v[4:5], v[122:123]                // 00000000E9A4: D3B1407A 1802F504
	v_pk_mul_f32 v[218:219], v[4:5], v[218:219]                // 00000000E9AC: D3B140DA 1803B504
	v_pk_mul_f32 v[132:133], v[4:5], v[132:133]                // 00000000E9B4: D3B14084 18030904
	v_pk_mul_f32 v[228:229], v[4:5], v[228:229]                // 00000000E9BC: D3B140E4 1803C904
	v_pk_mul_f32 v[134:135], v[4:5], v[134:135]                // 00000000E9C4: D3B14086 18030D04
	v_pk_mul_f32 v[230:231], v[4:5], v[230:231]                // 00000000E9CC: D3B140E6 1803CD04
	v_pk_mul_f32 v[144:145], v[4:5], v[144:145]                // 00000000E9D4: D3B14090 18032104
	v_pk_mul_f32 v[240:241], v[4:5], v[240:241]                // 00000000E9DC: D3B140F0 1803E104
	v_pk_mul_f32 v[146:147], v[4:5], v[146:147]                // 00000000E9E4: D3B14092 18032504
	v_pk_mul_f32 v[242:243], v[4:5], v[242:243]                // 00000000E9EC: D3B140F2 1803E504
	v_mov_b32_e32 v4, v35                                      // 00000000E9F4: 7E080323
	v_mov_b32_e32 v5, v4                                       // 00000000E9F8: 7E0A0304
	v_pk_mul_f32 v[64:65], v[4:5], v[64:65]                    // 00000000E9FC: D3B14040 18028104
	v_pk_mul_f32 v[160:161], v[4:5], v[160:161]                // 00000000EA04: D3B140A0 18034104
	v_pk_mul_f32 v[66:67], v[4:5], v[66:67]                    // 00000000EA0C: D3B14042 18028504
	v_pk_mul_f32 v[162:163], v[4:5], v[162:163]                // 00000000EA14: D3B140A2 18034504
	v_pk_mul_f32 v[76:77], v[4:5], v[76:77]                    // 00000000EA1C: D3B1404C 18029904
	v_pk_mul_f32 v[172:173], v[4:5], v[172:173]                // 00000000EA24: D3B140AC 18035904
	v_pk_mul_f32 v[78:79], v[4:5], v[78:79]                    // 00000000EA2C: D3B1404E 18029D04
	v_pk_mul_f32 v[174:175], v[4:5], v[174:175]                // 00000000EA34: D3B140AE 18035D04
	v_pk_mul_f32 v[88:89], v[4:5], v[88:89]                    // 00000000EA3C: D3B14058 1802B104
	v_pk_mul_f32 v[184:185], v[4:5], v[184:185]                // 00000000EA44: D3B140B8 18037104
	v_pk_mul_f32 v[90:91], v[4:5], v[90:91]                    // 00000000EA4C: D3B1405A 1802B504
	v_pk_mul_f32 v[186:187], v[4:5], v[186:187]                // 00000000EA54: D3B140BA 18037504
	v_pk_mul_f32 v[100:101], v[4:5], v[100:101]                // 00000000EA5C: D3B14064 1802C904
	v_pk_mul_f32 v[196:197], v[4:5], v[196:197]                // 00000000EA64: D3B140C4 18038904
	v_pk_mul_f32 v[102:103], v[4:5], v[102:103]                // 00000000EA6C: D3B14066 1802CD04
	v_pk_mul_f32 v[198:199], v[4:5], v[198:199]                // 00000000EA74: D3B140C6 18038D04
	v_pk_mul_f32 v[112:113], v[4:5], v[112:113]                // 00000000EA7C: D3B14070 1802E104
	v_pk_mul_f32 v[208:209], v[4:5], v[208:209]                // 00000000EA84: D3B140D0 1803A104
	v_pk_mul_f32 v[114:115], v[4:5], v[114:115]                // 00000000EA8C: D3B14072 1802E504
	v_pk_mul_f32 v[210:211], v[4:5], v[210:211]                // 00000000EA94: D3B140D2 1803A504
	v_pk_mul_f32 v[124:125], v[4:5], v[124:125]                // 00000000EA9C: D3B1407C 1802F904
	v_pk_mul_f32 v[220:221], v[4:5], v[220:221]                // 00000000EAA4: D3B140DC 1803B904
	v_pk_mul_f32 v[126:127], v[4:5], v[126:127]                // 00000000EAAC: D3B1407E 1802FD04
	v_pk_mul_f32 v[222:223], v[4:5], v[222:223]                // 00000000EAB4: D3B140DE 1803BD04
	v_pk_mul_f32 v[136:137], v[4:5], v[136:137]                // 00000000EABC: D3B14088 18031104
	v_pk_mul_f32 v[232:233], v[4:5], v[232:233]                // 00000000EAC4: D3B140E8 1803D104
	v_pk_mul_f32 v[138:139], v[4:5], v[138:139]                // 00000000EACC: D3B1408A 18031504
	v_pk_mul_f32 v[234:235], v[4:5], v[234:235]                // 00000000EAD4: D3B140EA 1803D504
	v_pk_mul_f32 v[148:149], v[4:5], v[148:149]                // 00000000EADC: D3B14094 18032904
	v_pk_mul_f32 v[244:245], v[4:5], v[244:245]                // 00000000EAE4: D3B140F4 1803E904
	v_pk_mul_f32 v[150:151], v[4:5], v[150:151]                // 00000000EAEC: D3B14096 18032D04
	v_pk_mul_f32 v[246:247], v[4:5], v[246:247]                // 00000000EAF4: D3B140F6 1803ED04
	v_mov_b32_e32 v4, v36                                      // 00000000EAFC: 7E080324
	v_mov_b32_e32 v5, v4                                       // 00000000EB00: 7E0A0304
	v_pk_mul_f32 v[68:69], v[4:5], v[68:69]                    // 00000000EB04: D3B14044 18028904
	v_pk_mul_f32 v[164:165], v[4:5], v[164:165]                // 00000000EB0C: D3B140A4 18034904
	v_pk_mul_f32 v[70:71], v[4:5], v[70:71]                    // 00000000EB14: D3B14046 18028D04
	v_pk_mul_f32 v[166:167], v[4:5], v[166:167]                // 00000000EB1C: D3B140A6 18034D04
	v_pk_mul_f32 v[80:81], v[4:5], v[80:81]                    // 00000000EB24: D3B14050 1802A104
	v_pk_mul_f32 v[176:177], v[4:5], v[176:177]                // 00000000EB2C: D3B140B0 18036104
	v_pk_mul_f32 v[82:83], v[4:5], v[82:83]                    // 00000000EB34: D3B14052 1802A504
	v_pk_mul_f32 v[178:179], v[4:5], v[178:179]                // 00000000EB3C: D3B140B2 18036504
	v_pk_mul_f32 v[92:93], v[4:5], v[92:93]                    // 00000000EB44: D3B1405C 1802B904
	v_pk_mul_f32 v[188:189], v[4:5], v[188:189]                // 00000000EB4C: D3B140BC 18037904
	v_pk_mul_f32 v[94:95], v[4:5], v[94:95]                    // 00000000EB54: D3B1405E 1802BD04
	v_pk_mul_f32 v[190:191], v[4:5], v[190:191]                // 00000000EB5C: D3B140BE 18037D04
	v_pk_mul_f32 v[104:105], v[4:5], v[104:105]                // 00000000EB64: D3B14068 1802D104
	v_pk_mul_f32 v[200:201], v[4:5], v[200:201]                // 00000000EB6C: D3B140C8 18039104
	v_pk_mul_f32 v[106:107], v[4:5], v[106:107]                // 00000000EB74: D3B1406A 1802D504
	v_pk_mul_f32 v[202:203], v[4:5], v[202:203]                // 00000000EB7C: D3B140CA 18039504
	v_pk_mul_f32 v[116:117], v[4:5], v[116:117]                // 00000000EB84: D3B14074 1802E904
	v_pk_mul_f32 v[212:213], v[4:5], v[212:213]                // 00000000EB8C: D3B140D4 1803A904
	v_pk_mul_f32 v[118:119], v[4:5], v[118:119]                // 00000000EB94: D3B14076 1802ED04
	v_pk_mul_f32 v[214:215], v[4:5], v[214:215]                // 00000000EB9C: D3B140D6 1803AD04
	v_pk_mul_f32 v[128:129], v[4:5], v[128:129]                // 00000000EBA4: D3B14080 18030104
	v_pk_mul_f32 v[224:225], v[4:5], v[224:225]                // 00000000EBAC: D3B140E0 1803C104
	v_pk_mul_f32 v[130:131], v[4:5], v[130:131]                // 00000000EBB4: D3B14082 18030504
	v_pk_mul_f32 v[226:227], v[4:5], v[226:227]                // 00000000EBBC: D3B140E2 1803C504
	v_pk_mul_f32 v[140:141], v[4:5], v[140:141]                // 00000000EBC4: D3B1408C 18031904
	v_pk_mul_f32 v[236:237], v[4:5], v[236:237]                // 00000000EBCC: D3B140EC 1803D904
	v_pk_mul_f32 v[142:143], v[4:5], v[142:143]                // 00000000EBD4: D3B1408E 18031D04
	v_pk_mul_f32 v[238:239], v[4:5], v[238:239]                // 00000000EBDC: D3B140EE 1803DD04
	v_pk_mul_f32 v[152:153], v[4:5], v[152:153]                // 00000000EBE4: D3B14098 18033104
	v_pk_mul_f32 v[248:249], v[4:5], v[248:249]                // 00000000EBEC: D3B140F8 1803F104
	v_pk_mul_f32 v[154:155], v[4:5], v[154:155]                // 00000000EBF4: D3B1409A 18033504
	v_pk_mul_f32 v[250:251], v[4:5], v[250:251]                // 00000000EBFC: D3B140FA 1803F504
	s_cmp_eq_u32 s88, 0                                        // 00000000EC04: BF068058
	s_cbranch_scc0 label_3BDB                                  // 00000000EC08: BF840B55
	s_cmp_eq_u32 s89, 0                                        // 00000000EC0C: BF068059
	s_cbranch_scc1 label_344D                                  // 00000000EC10: BF8503C5
	v_mov_b32_e32 v8, v1                                       // 00000000EC14: 7E100301
	v_mov_b32_e32 v9, v1                                       // 00000000EC18: 7E120301
	s_mov_b32 s60, s6                                          // 00000000EC1C: BEBC0006
	s_mov_b32 s61, s6                                          // 00000000EC20: BEBD0006
	v_pk_mul_f32 v[4:5], v[60:61], v[60:61]                    // 00000000EC24: D3B14004 1802793C
	v_pk_mul_f32 v[6:7], v[62:63], v[62:63]                    // 00000000EC2C: D3B14006 18027D3E
	v_pk_fma_f32 v[4:5], v[4:5], s[78:79], v[8:9]              // 00000000EC34: D3B04004 1C209D04
	v_pk_fma_f32 v[6:7], v[6:7], s[78:79], v[8:9]              // 00000000EC3C: D3B04006 1C209D06
	v_pk_mul_f32 v[4:5], v[4:5], v[60:61]                      // 00000000EC44: D3B14004 18027904
	v_pk_mul_f32 v[6:7], v[6:7], v[62:63]                      // 00000000EC4C: D3B14006 18027D06
	v_pk_mul_f32 v[4:5], v[4:5], s[60:61]                      // 00000000EC54: D3B14004 18007904
	v_pk_mul_f32 v[6:7], v[6:7], s[60:61]                      // 00000000EC5C: D3B14006 18007906
	v_exp_f32_e32 v4, v4                                       // 00000000EC64: 7E084104
	v_exp_f32_e32 v5, v5                                       // 00000000EC68: 7E0A4105
	v_exp_f32_e32 v6, v6                                       // 00000000EC6C: 7E0C4106
	v_exp_f32_e32 v7, v7                                       // 00000000EC70: 7E0E4107
	v_add_f32_e64 v4, v4, 1.0                                  // 00000000EC74: D1010004 0001E504
	v_add_f32_e64 v5, v5, 1.0                                  // 00000000EC7C: D1010005 0001E505
	v_add_f32_e64 v6, v6, 1.0                                  // 00000000EC84: D1010006 0001E506
	v_add_f32_e64 v7, v7, 1.0                                  // 00000000EC8C: D1010007 0001E507
	v_rcp_f32_e32 v4, v4                                       // 00000000EC94: 7E084504
	v_rcp_f32_e32 v5, v5                                       // 00000000EC98: 7E0A4505
	v_rcp_f32_e32 v6, v6                                       // 00000000EC9C: 7E0C4506
	v_rcp_f32_e32 v7, v7                                       // 00000000ECA0: 7E0E4507
	v_mul_f32_e32 v60, v60, v4                                 // 00000000ECA4: 0A78093C
	v_mul_f32_e32 v61, v61, v5                                 // 00000000ECA8: 0A7A0B3D
	v_mul_f32_e32 v62, v62, v6                                 // 00000000ECAC: 0A7C0D3E
	v_mul_f32_e32 v63, v63, v7                                 // 00000000ECB0: 0A7E0F3F
	v_mul_f32_e32 v60, v60, v156                               // 00000000ECB4: 0A79393C
	v_mul_f32_e32 v61, v61, v157                               // 00000000ECB8: 0A7B3B3D
	v_mul_f32_e32 v62, v62, v158                               // 00000000ECBC: 0A7D3D3E
	v_mul_f32_e32 v63, v63, v159                               // 00000000ECC0: 0A7F3F3F
	v_pk_mul_f32 v[4:5], v[64:65], v[64:65]                    // 00000000ECC4: D3B14004 18028140
	v_pk_mul_f32 v[6:7], v[66:67], v[66:67]                    // 00000000ECCC: D3B14006 18028542
	v_pk_fma_f32 v[4:5], v[4:5], s[78:79], v[8:9]              // 00000000ECD4: D3B04004 1C209D04
	v_pk_fma_f32 v[6:7], v[6:7], s[78:79], v[8:9]              // 00000000ECDC: D3B04006 1C209D06
	v_pk_mul_f32 v[4:5], v[4:5], v[64:65]                      // 00000000ECE4: D3B14004 18028104
	v_pk_mul_f32 v[6:7], v[6:7], v[66:67]                      // 00000000ECEC: D3B14006 18028506
	v_pk_mul_f32 v[4:5], v[4:5], s[60:61]                      // 00000000ECF4: D3B14004 18007904
	v_pk_mul_f32 v[6:7], v[6:7], s[60:61]                      // 00000000ECFC: D3B14006 18007906
	v_exp_f32_e32 v4, v4                                       // 00000000ED04: 7E084104
	v_exp_f32_e32 v5, v5                                       // 00000000ED08: 7E0A4105
	v_exp_f32_e32 v6, v6                                       // 00000000ED0C: 7E0C4106
	v_exp_f32_e32 v7, v7                                       // 00000000ED10: 7E0E4107
	v_add_f32_e64 v4, v4, 1.0                                  // 00000000ED14: D1010004 0001E504
	v_add_f32_e64 v5, v5, 1.0                                  // 00000000ED1C: D1010005 0001E505
	v_add_f32_e64 v6, v6, 1.0                                  // 00000000ED24: D1010006 0001E506
	v_add_f32_e64 v7, v7, 1.0                                  // 00000000ED2C: D1010007 0001E507
	v_rcp_f32_e32 v4, v4                                       // 00000000ED34: 7E084504
	v_rcp_f32_e32 v5, v5                                       // 00000000ED38: 7E0A4505
	v_rcp_f32_e32 v6, v6                                       // 00000000ED3C: 7E0C4506
	v_rcp_f32_e32 v7, v7                                       // 00000000ED40: 7E0E4507
	v_mul_f32_e32 v64, v64, v4                                 // 00000000ED44: 0A800940
	v_mul_f32_e32 v65, v65, v5                                 // 00000000ED48: 0A820B41
	v_mul_f32_e32 v66, v66, v6                                 // 00000000ED4C: 0A840D42
	v_mul_f32_e32 v67, v67, v7                                 // 00000000ED50: 0A860F43
	v_mul_f32_e32 v64, v64, v160                               // 00000000ED54: 0A814140
	v_mul_f32_e32 v65, v65, v161                               // 00000000ED58: 0A834341
	v_mul_f32_e32 v66, v66, v162                               // 00000000ED5C: 0A854542
	v_mul_f32_e32 v67, v67, v163                               // 00000000ED60: 0A874743
	v_pk_mul_f32 v[4:5], v[68:69], v[68:69]                    // 00000000ED64: D3B14004 18028944
	v_pk_mul_f32 v[6:7], v[70:71], v[70:71]                    // 00000000ED6C: D3B14006 18028D46
	v_pk_fma_f32 v[4:5], v[4:5], s[78:79], v[8:9]              // 00000000ED74: D3B04004 1C209D04
	v_pk_fma_f32 v[6:7], v[6:7], s[78:79], v[8:9]              // 00000000ED7C: D3B04006 1C209D06
	v_pk_mul_f32 v[4:5], v[4:5], v[68:69]                      // 00000000ED84: D3B14004 18028904
	v_pk_mul_f32 v[6:7], v[6:7], v[70:71]                      // 00000000ED8C: D3B14006 18028D06
	v_pk_mul_f32 v[4:5], v[4:5], s[60:61]                      // 00000000ED94: D3B14004 18007904
	v_pk_mul_f32 v[6:7], v[6:7], s[60:61]                      // 00000000ED9C: D3B14006 18007906
	v_exp_f32_e32 v4, v4                                       // 00000000EDA4: 7E084104
	v_exp_f32_e32 v5, v5                                       // 00000000EDA8: 7E0A4105
	v_exp_f32_e32 v6, v6                                       // 00000000EDAC: 7E0C4106
	v_exp_f32_e32 v7, v7                                       // 00000000EDB0: 7E0E4107
	v_add_f32_e64 v4, v4, 1.0                                  // 00000000EDB4: D1010004 0001E504
	v_add_f32_e64 v5, v5, 1.0                                  // 00000000EDBC: D1010005 0001E505
	v_add_f32_e64 v6, v6, 1.0                                  // 00000000EDC4: D1010006 0001E506
	v_add_f32_e64 v7, v7, 1.0                                  // 00000000EDCC: D1010007 0001E507
	v_rcp_f32_e32 v4, v4                                       // 00000000EDD4: 7E084504
	v_rcp_f32_e32 v5, v5                                       // 00000000EDD8: 7E0A4505
	v_rcp_f32_e32 v6, v6                                       // 00000000EDDC: 7E0C4506
	v_rcp_f32_e32 v7, v7                                       // 00000000EDE0: 7E0E4507
	v_mul_f32_e32 v68, v68, v4                                 // 00000000EDE4: 0A880944
	v_mul_f32_e32 v69, v69, v5                                 // 00000000EDE8: 0A8A0B45
	v_mul_f32_e32 v70, v70, v6                                 // 00000000EDEC: 0A8C0D46
	v_mul_f32_e32 v71, v71, v7                                 // 00000000EDF0: 0A8E0F47
	v_mul_f32_e32 v68, v68, v164                               // 00000000EDF4: 0A894944
	v_mul_f32_e32 v69, v69, v165                               // 00000000EDF8: 0A8B4B45
	v_mul_f32_e32 v70, v70, v166                               // 00000000EDFC: 0A8D4D46
	v_mul_f32_e32 v71, v71, v167                               // 00000000EE00: 0A8F4F47
	v_pk_mul_f32 v[4:5], v[72:73], v[72:73]                    // 00000000EE04: D3B14004 18029148
	v_pk_mul_f32 v[6:7], v[74:75], v[74:75]                    // 00000000EE0C: D3B14006 1802954A
	v_pk_fma_f32 v[4:5], v[4:5], s[78:79], v[8:9]              // 00000000EE14: D3B04004 1C209D04
	v_pk_fma_f32 v[6:7], v[6:7], s[78:79], v[8:9]              // 00000000EE1C: D3B04006 1C209D06
	v_pk_mul_f32 v[4:5], v[4:5], v[72:73]                      // 00000000EE24: D3B14004 18029104
	v_pk_mul_f32 v[6:7], v[6:7], v[74:75]                      // 00000000EE2C: D3B14006 18029506
	v_pk_mul_f32 v[4:5], v[4:5], s[60:61]                      // 00000000EE34: D3B14004 18007904
	v_pk_mul_f32 v[6:7], v[6:7], s[60:61]                      // 00000000EE3C: D3B14006 18007906
	v_exp_f32_e32 v4, v4                                       // 00000000EE44: 7E084104
	v_exp_f32_e32 v5, v5                                       // 00000000EE48: 7E0A4105
	v_exp_f32_e32 v6, v6                                       // 00000000EE4C: 7E0C4106
	v_exp_f32_e32 v7, v7                                       // 00000000EE50: 7E0E4107
	v_add_f32_e64 v4, v4, 1.0                                  // 00000000EE54: D1010004 0001E504
	v_add_f32_e64 v5, v5, 1.0                                  // 00000000EE5C: D1010005 0001E505
	v_add_f32_e64 v6, v6, 1.0                                  // 00000000EE64: D1010006 0001E506
	v_add_f32_e64 v7, v7, 1.0                                  // 00000000EE6C: D1010007 0001E507
	v_rcp_f32_e32 v4, v4                                       // 00000000EE74: 7E084504
	v_rcp_f32_e32 v5, v5                                       // 00000000EE78: 7E0A4505
	v_rcp_f32_e32 v6, v6                                       // 00000000EE7C: 7E0C4506
	v_rcp_f32_e32 v7, v7                                       // 00000000EE80: 7E0E4507
	v_mul_f32_e32 v72, v72, v4                                 // 00000000EE84: 0A900948
	v_mul_f32_e32 v73, v73, v5                                 // 00000000EE88: 0A920B49
	v_mul_f32_e32 v74, v74, v6                                 // 00000000EE8C: 0A940D4A
	v_mul_f32_e32 v75, v75, v7                                 // 00000000EE90: 0A960F4B
	v_mul_f32_e32 v72, v72, v168                               // 00000000EE94: 0A915148
	v_mul_f32_e32 v73, v73, v169                               // 00000000EE98: 0A935349
	v_mul_f32_e32 v74, v74, v170                               // 00000000EE9C: 0A95554A
	v_mul_f32_e32 v75, v75, v171                               // 00000000EEA0: 0A97574B
	v_pk_mul_f32 v[4:5], v[76:77], v[76:77]                    // 00000000EEA4: D3B14004 1802994C
	v_pk_mul_f32 v[6:7], v[78:79], v[78:79]                    // 00000000EEAC: D3B14006 18029D4E
	v_pk_fma_f32 v[4:5], v[4:5], s[78:79], v[8:9]              // 00000000EEB4: D3B04004 1C209D04
	v_pk_fma_f32 v[6:7], v[6:7], s[78:79], v[8:9]              // 00000000EEBC: D3B04006 1C209D06
	v_pk_mul_f32 v[4:5], v[4:5], v[76:77]                      // 00000000EEC4: D3B14004 18029904
	v_pk_mul_f32 v[6:7], v[6:7], v[78:79]                      // 00000000EECC: D3B14006 18029D06
	v_pk_mul_f32 v[4:5], v[4:5], s[60:61]                      // 00000000EED4: D3B14004 18007904
	v_pk_mul_f32 v[6:7], v[6:7], s[60:61]                      // 00000000EEDC: D3B14006 18007906
	v_exp_f32_e32 v4, v4                                       // 00000000EEE4: 7E084104
	v_exp_f32_e32 v5, v5                                       // 00000000EEE8: 7E0A4105
	v_exp_f32_e32 v6, v6                                       // 00000000EEEC: 7E0C4106
	v_exp_f32_e32 v7, v7                                       // 00000000EEF0: 7E0E4107
	v_add_f32_e64 v4, v4, 1.0                                  // 00000000EEF4: D1010004 0001E504
	v_add_f32_e64 v5, v5, 1.0                                  // 00000000EEFC: D1010005 0001E505
	v_add_f32_e64 v6, v6, 1.0                                  // 00000000EF04: D1010006 0001E506
	v_add_f32_e64 v7, v7, 1.0                                  // 00000000EF0C: D1010007 0001E507
	v_rcp_f32_e32 v4, v4                                       // 00000000EF14: 7E084504
	v_rcp_f32_e32 v5, v5                                       // 00000000EF18: 7E0A4505
	v_rcp_f32_e32 v6, v6                                       // 00000000EF1C: 7E0C4506
	v_rcp_f32_e32 v7, v7                                       // 00000000EF20: 7E0E4507
	v_mul_f32_e32 v76, v76, v4                                 // 00000000EF24: 0A98094C
	v_mul_f32_e32 v77, v77, v5                                 // 00000000EF28: 0A9A0B4D
	v_mul_f32_e32 v78, v78, v6                                 // 00000000EF2C: 0A9C0D4E
	v_mul_f32_e32 v79, v79, v7                                 // 00000000EF30: 0A9E0F4F
	v_mul_f32_e32 v76, v76, v172                               // 00000000EF34: 0A99594C
	v_mul_f32_e32 v77, v77, v173                               // 00000000EF38: 0A9B5B4D
	v_mul_f32_e32 v78, v78, v174                               // 00000000EF3C: 0A9D5D4E
	v_mul_f32_e32 v79, v79, v175                               // 00000000EF40: 0A9F5F4F
	v_pk_mul_f32 v[4:5], v[80:81], v[80:81]                    // 00000000EF44: D3B14004 1802A150
	v_pk_mul_f32 v[6:7], v[82:83], v[82:83]                    // 00000000EF4C: D3B14006 1802A552
	v_pk_fma_f32 v[4:5], v[4:5], s[78:79], v[8:9]              // 00000000EF54: D3B04004 1C209D04
	v_pk_fma_f32 v[6:7], v[6:7], s[78:79], v[8:9]              // 00000000EF5C: D3B04006 1C209D06
	v_pk_mul_f32 v[4:5], v[4:5], v[80:81]                      // 00000000EF64: D3B14004 1802A104
	v_pk_mul_f32 v[6:7], v[6:7], v[82:83]                      // 00000000EF6C: D3B14006 1802A506
	v_pk_mul_f32 v[4:5], v[4:5], s[60:61]                      // 00000000EF74: D3B14004 18007904
	v_pk_mul_f32 v[6:7], v[6:7], s[60:61]                      // 00000000EF7C: D3B14006 18007906
	v_exp_f32_e32 v4, v4                                       // 00000000EF84: 7E084104
	v_exp_f32_e32 v5, v5                                       // 00000000EF88: 7E0A4105
	v_exp_f32_e32 v6, v6                                       // 00000000EF8C: 7E0C4106
	v_exp_f32_e32 v7, v7                                       // 00000000EF90: 7E0E4107
	v_add_f32_e64 v4, v4, 1.0                                  // 00000000EF94: D1010004 0001E504
	v_add_f32_e64 v5, v5, 1.0                                  // 00000000EF9C: D1010005 0001E505
	v_add_f32_e64 v6, v6, 1.0                                  // 00000000EFA4: D1010006 0001E506
	v_add_f32_e64 v7, v7, 1.0                                  // 00000000EFAC: D1010007 0001E507
	v_rcp_f32_e32 v4, v4                                       // 00000000EFB4: 7E084504
	v_rcp_f32_e32 v5, v5                                       // 00000000EFB8: 7E0A4505
	v_rcp_f32_e32 v6, v6                                       // 00000000EFBC: 7E0C4506
	v_rcp_f32_e32 v7, v7                                       // 00000000EFC0: 7E0E4507
	v_mul_f32_e32 v80, v80, v4                                 // 00000000EFC4: 0AA00950
	v_mul_f32_e32 v81, v81, v5                                 // 00000000EFC8: 0AA20B51
	v_mul_f32_e32 v82, v82, v6                                 // 00000000EFCC: 0AA40D52
	v_mul_f32_e32 v83, v83, v7                                 // 00000000EFD0: 0AA60F53
	v_mul_f32_e32 v80, v80, v176                               // 00000000EFD4: 0AA16150
	v_mul_f32_e32 v81, v81, v177                               // 00000000EFD8: 0AA36351
	v_mul_f32_e32 v82, v82, v178                               // 00000000EFDC: 0AA56552
	v_mul_f32_e32 v83, v83, v179                               // 00000000EFE0: 0AA76753
	v_pk_mul_f32 v[4:5], v[84:85], v[84:85]                    // 00000000EFE4: D3B14004 1802A954
	v_pk_mul_f32 v[6:7], v[86:87], v[86:87]                    // 00000000EFEC: D3B14006 1802AD56
	v_pk_fma_f32 v[4:5], v[4:5], s[78:79], v[8:9]              // 00000000EFF4: D3B04004 1C209D04
	v_pk_fma_f32 v[6:7], v[6:7], s[78:79], v[8:9]              // 00000000EFFC: D3B04006 1C209D06
	v_pk_mul_f32 v[4:5], v[4:5], v[84:85]                      // 00000000F004: D3B14004 1802A904
	v_pk_mul_f32 v[6:7], v[6:7], v[86:87]                      // 00000000F00C: D3B14006 1802AD06
	v_pk_mul_f32 v[4:5], v[4:5], s[60:61]                      // 00000000F014: D3B14004 18007904
	v_pk_mul_f32 v[6:7], v[6:7], s[60:61]                      // 00000000F01C: D3B14006 18007906
	v_exp_f32_e32 v4, v4                                       // 00000000F024: 7E084104
	v_exp_f32_e32 v5, v5                                       // 00000000F028: 7E0A4105
	v_exp_f32_e32 v6, v6                                       // 00000000F02C: 7E0C4106
	v_exp_f32_e32 v7, v7                                       // 00000000F030: 7E0E4107
	v_add_f32_e64 v4, v4, 1.0                                  // 00000000F034: D1010004 0001E504
	v_add_f32_e64 v5, v5, 1.0                                  // 00000000F03C: D1010005 0001E505
	v_add_f32_e64 v6, v6, 1.0                                  // 00000000F044: D1010006 0001E506
	v_add_f32_e64 v7, v7, 1.0                                  // 00000000F04C: D1010007 0001E507
	v_rcp_f32_e32 v4, v4                                       // 00000000F054: 7E084504
	v_rcp_f32_e32 v5, v5                                       // 00000000F058: 7E0A4505
	v_rcp_f32_e32 v6, v6                                       // 00000000F05C: 7E0C4506
	v_rcp_f32_e32 v7, v7                                       // 00000000F060: 7E0E4507
	v_mul_f32_e32 v84, v84, v4                                 // 00000000F064: 0AA80954
	v_mul_f32_e32 v85, v85, v5                                 // 00000000F068: 0AAA0B55
	v_mul_f32_e32 v86, v86, v6                                 // 00000000F06C: 0AAC0D56
	v_mul_f32_e32 v87, v87, v7                                 // 00000000F070: 0AAE0F57
	v_mul_f32_e32 v84, v84, v180                               // 00000000F074: 0AA96954
	v_mul_f32_e32 v85, v85, v181                               // 00000000F078: 0AAB6B55
	v_mul_f32_e32 v86, v86, v182                               // 00000000F07C: 0AAD6D56
	v_mul_f32_e32 v87, v87, v183                               // 00000000F080: 0AAF6F57
	v_pk_mul_f32 v[4:5], v[88:89], v[88:89]                    // 00000000F084: D3B14004 1802B158
	v_pk_mul_f32 v[6:7], v[90:91], v[90:91]                    // 00000000F08C: D3B14006 1802B55A
	v_pk_fma_f32 v[4:5], v[4:5], s[78:79], v[8:9]              // 00000000F094: D3B04004 1C209D04
	v_pk_fma_f32 v[6:7], v[6:7], s[78:79], v[8:9]              // 00000000F09C: D3B04006 1C209D06
	v_pk_mul_f32 v[4:5], v[4:5], v[88:89]                      // 00000000F0A4: D3B14004 1802B104
	v_pk_mul_f32 v[6:7], v[6:7], v[90:91]                      // 00000000F0AC: D3B14006 1802B506
	v_pk_mul_f32 v[4:5], v[4:5], s[60:61]                      // 00000000F0B4: D3B14004 18007904
	v_pk_mul_f32 v[6:7], v[6:7], s[60:61]                      // 00000000F0BC: D3B14006 18007906
	v_exp_f32_e32 v4, v4                                       // 00000000F0C4: 7E084104
	v_exp_f32_e32 v5, v5                                       // 00000000F0C8: 7E0A4105
	v_exp_f32_e32 v6, v6                                       // 00000000F0CC: 7E0C4106
	v_exp_f32_e32 v7, v7                                       // 00000000F0D0: 7E0E4107
	v_add_f32_e64 v4, v4, 1.0                                  // 00000000F0D4: D1010004 0001E504
	v_add_f32_e64 v5, v5, 1.0                                  // 00000000F0DC: D1010005 0001E505
	v_add_f32_e64 v6, v6, 1.0                                  // 00000000F0E4: D1010006 0001E506
	v_add_f32_e64 v7, v7, 1.0                                  // 00000000F0EC: D1010007 0001E507
	v_rcp_f32_e32 v4, v4                                       // 00000000F0F4: 7E084504
	v_rcp_f32_e32 v5, v5                                       // 00000000F0F8: 7E0A4505
	v_rcp_f32_e32 v6, v6                                       // 00000000F0FC: 7E0C4506
	v_rcp_f32_e32 v7, v7                                       // 00000000F100: 7E0E4507
	v_mul_f32_e32 v88, v88, v4                                 // 00000000F104: 0AB00958
	v_mul_f32_e32 v89, v89, v5                                 // 00000000F108: 0AB20B59
	v_mul_f32_e32 v90, v90, v6                                 // 00000000F10C: 0AB40D5A
	v_mul_f32_e32 v91, v91, v7                                 // 00000000F110: 0AB60F5B
	v_mul_f32_e32 v88, v88, v184                               // 00000000F114: 0AB17158
	v_mul_f32_e32 v89, v89, v185                               // 00000000F118: 0AB37359
	v_mul_f32_e32 v90, v90, v186                               // 00000000F11C: 0AB5755A
	v_mul_f32_e32 v91, v91, v187                               // 00000000F120: 0AB7775B
	v_pk_mul_f32 v[4:5], v[92:93], v[92:93]                    // 00000000F124: D3B14004 1802B95C
	v_pk_mul_f32 v[6:7], v[94:95], v[94:95]                    // 00000000F12C: D3B14006 1802BD5E
	v_pk_fma_f32 v[4:5], v[4:5], s[78:79], v[8:9]              // 00000000F134: D3B04004 1C209D04
	v_pk_fma_f32 v[6:7], v[6:7], s[78:79], v[8:9]              // 00000000F13C: D3B04006 1C209D06
	v_pk_mul_f32 v[4:5], v[4:5], v[92:93]                      // 00000000F144: D3B14004 1802B904
	v_pk_mul_f32 v[6:7], v[6:7], v[94:95]                      // 00000000F14C: D3B14006 1802BD06
	v_pk_mul_f32 v[4:5], v[4:5], s[60:61]                      // 00000000F154: D3B14004 18007904
	v_pk_mul_f32 v[6:7], v[6:7], s[60:61]                      // 00000000F15C: D3B14006 18007906
	v_exp_f32_e32 v4, v4                                       // 00000000F164: 7E084104
	v_exp_f32_e32 v5, v5                                       // 00000000F168: 7E0A4105
	v_exp_f32_e32 v6, v6                                       // 00000000F16C: 7E0C4106
	v_exp_f32_e32 v7, v7                                       // 00000000F170: 7E0E4107
	v_add_f32_e64 v4, v4, 1.0                                  // 00000000F174: D1010004 0001E504
	v_add_f32_e64 v5, v5, 1.0                                  // 00000000F17C: D1010005 0001E505
	v_add_f32_e64 v6, v6, 1.0                                  // 00000000F184: D1010006 0001E506
	v_add_f32_e64 v7, v7, 1.0                                  // 00000000F18C: D1010007 0001E507
	v_rcp_f32_e32 v4, v4                                       // 00000000F194: 7E084504
	v_rcp_f32_e32 v5, v5                                       // 00000000F198: 7E0A4505
	v_rcp_f32_e32 v6, v6                                       // 00000000F19C: 7E0C4506
	v_rcp_f32_e32 v7, v7                                       // 00000000F1A0: 7E0E4507
	v_mul_f32_e32 v92, v92, v4                                 // 00000000F1A4: 0AB8095C
	v_mul_f32_e32 v93, v93, v5                                 // 00000000F1A8: 0ABA0B5D
	v_mul_f32_e32 v94, v94, v6                                 // 00000000F1AC: 0ABC0D5E
	v_mul_f32_e32 v95, v95, v7                                 // 00000000F1B0: 0ABE0F5F
	v_mul_f32_e32 v92, v92, v188                               // 00000000F1B4: 0AB9795C
	v_mul_f32_e32 v93, v93, v189                               // 00000000F1B8: 0ABB7B5D
	v_mul_f32_e32 v94, v94, v190                               // 00000000F1BC: 0ABD7D5E
	v_mul_f32_e32 v95, v95, v191                               // 00000000F1C0: 0ABF7F5F
	v_pk_mul_f32 v[4:5], v[96:97], v[96:97]                    // 00000000F1C4: D3B14004 1802C160
	v_pk_mul_f32 v[6:7], v[98:99], v[98:99]                    // 00000000F1CC: D3B14006 1802C562
	v_pk_fma_f32 v[4:5], v[4:5], s[78:79], v[8:9]              // 00000000F1D4: D3B04004 1C209D04
	v_pk_fma_f32 v[6:7], v[6:7], s[78:79], v[8:9]              // 00000000F1DC: D3B04006 1C209D06
	v_pk_mul_f32 v[4:5], v[4:5], v[96:97]                      // 00000000F1E4: D3B14004 1802C104
	v_pk_mul_f32 v[6:7], v[6:7], v[98:99]                      // 00000000F1EC: D3B14006 1802C506
	v_pk_mul_f32 v[4:5], v[4:5], s[60:61]                      // 00000000F1F4: D3B14004 18007904
	v_pk_mul_f32 v[6:7], v[6:7], s[60:61]                      // 00000000F1FC: D3B14006 18007906
	v_exp_f32_e32 v4, v4                                       // 00000000F204: 7E084104
	v_exp_f32_e32 v5, v5                                       // 00000000F208: 7E0A4105
	v_exp_f32_e32 v6, v6                                       // 00000000F20C: 7E0C4106
	v_exp_f32_e32 v7, v7                                       // 00000000F210: 7E0E4107
	v_add_f32_e64 v4, v4, 1.0                                  // 00000000F214: D1010004 0001E504
	v_add_f32_e64 v5, v5, 1.0                                  // 00000000F21C: D1010005 0001E505
	v_add_f32_e64 v6, v6, 1.0                                  // 00000000F224: D1010006 0001E506
	v_add_f32_e64 v7, v7, 1.0                                  // 00000000F22C: D1010007 0001E507
	v_rcp_f32_e32 v4, v4                                       // 00000000F234: 7E084504
	v_rcp_f32_e32 v5, v5                                       // 00000000F238: 7E0A4505
	v_rcp_f32_e32 v6, v6                                       // 00000000F23C: 7E0C4506
	v_rcp_f32_e32 v7, v7                                       // 00000000F240: 7E0E4507
	v_mul_f32_e32 v96, v96, v4                                 // 00000000F244: 0AC00960
	v_mul_f32_e32 v97, v97, v5                                 // 00000000F248: 0AC20B61
	v_mul_f32_e32 v98, v98, v6                                 // 00000000F24C: 0AC40D62
	v_mul_f32_e32 v99, v99, v7                                 // 00000000F250: 0AC60F63
	v_mul_f32_e32 v96, v96, v192                               // 00000000F254: 0AC18160
	v_mul_f32_e32 v97, v97, v193                               // 00000000F258: 0AC38361
	v_mul_f32_e32 v98, v98, v194                               // 00000000F25C: 0AC58562
	v_mul_f32_e32 v99, v99, v195                               // 00000000F260: 0AC78763
	v_pk_mul_f32 v[4:5], v[100:101], v[100:101]                // 00000000F264: D3B14004 1802C964
	v_pk_mul_f32 v[6:7], v[102:103], v[102:103]                // 00000000F26C: D3B14006 1802CD66
	v_pk_fma_f32 v[4:5], v[4:5], s[78:79], v[8:9]              // 00000000F274: D3B04004 1C209D04
	v_pk_fma_f32 v[6:7], v[6:7], s[78:79], v[8:9]              // 00000000F27C: D3B04006 1C209D06
	v_pk_mul_f32 v[4:5], v[4:5], v[100:101]                    // 00000000F284: D3B14004 1802C904
	v_pk_mul_f32 v[6:7], v[6:7], v[102:103]                    // 00000000F28C: D3B14006 1802CD06
	v_pk_mul_f32 v[4:5], v[4:5], s[60:61]                      // 00000000F294: D3B14004 18007904
	v_pk_mul_f32 v[6:7], v[6:7], s[60:61]                      // 00000000F29C: D3B14006 18007906
	v_exp_f32_e32 v4, v4                                       // 00000000F2A4: 7E084104
	v_exp_f32_e32 v5, v5                                       // 00000000F2A8: 7E0A4105
	v_exp_f32_e32 v6, v6                                       // 00000000F2AC: 7E0C4106
	v_exp_f32_e32 v7, v7                                       // 00000000F2B0: 7E0E4107
	v_add_f32_e64 v4, v4, 1.0                                  // 00000000F2B4: D1010004 0001E504
	v_add_f32_e64 v5, v5, 1.0                                  // 00000000F2BC: D1010005 0001E505
	v_add_f32_e64 v6, v6, 1.0                                  // 00000000F2C4: D1010006 0001E506
	v_add_f32_e64 v7, v7, 1.0                                  // 00000000F2CC: D1010007 0001E507
	v_rcp_f32_e32 v4, v4                                       // 00000000F2D4: 7E084504
	v_rcp_f32_e32 v5, v5                                       // 00000000F2D8: 7E0A4505
	v_rcp_f32_e32 v6, v6                                       // 00000000F2DC: 7E0C4506
	v_rcp_f32_e32 v7, v7                                       // 00000000F2E0: 7E0E4507
	v_mul_f32_e32 v100, v100, v4                               // 00000000F2E4: 0AC80964
	v_mul_f32_e32 v101, v101, v5                               // 00000000F2E8: 0ACA0B65
	v_mul_f32_e32 v102, v102, v6                               // 00000000F2EC: 0ACC0D66
	v_mul_f32_e32 v103, v103, v7                               // 00000000F2F0: 0ACE0F67
	v_mul_f32_e32 v100, v100, v196                             // 00000000F2F4: 0AC98964
	v_mul_f32_e32 v101, v101, v197                             // 00000000F2F8: 0ACB8B65
	v_mul_f32_e32 v102, v102, v198                             // 00000000F2FC: 0ACD8D66
	v_mul_f32_e32 v103, v103, v199                             // 00000000F300: 0ACF8F67
	v_pk_mul_f32 v[4:5], v[104:105], v[104:105]                // 00000000F304: D3B14004 1802D168
	v_pk_mul_f32 v[6:7], v[106:107], v[106:107]                // 00000000F30C: D3B14006 1802D56A
	v_pk_fma_f32 v[4:5], v[4:5], s[78:79], v[8:9]              // 00000000F314: D3B04004 1C209D04
	v_pk_fma_f32 v[6:7], v[6:7], s[78:79], v[8:9]              // 00000000F31C: D3B04006 1C209D06
	v_pk_mul_f32 v[4:5], v[4:5], v[104:105]                    // 00000000F324: D3B14004 1802D104
	v_pk_mul_f32 v[6:7], v[6:7], v[106:107]                    // 00000000F32C: D3B14006 1802D506
	v_pk_mul_f32 v[4:5], v[4:5], s[60:61]                      // 00000000F334: D3B14004 18007904
	v_pk_mul_f32 v[6:7], v[6:7], s[60:61]                      // 00000000F33C: D3B14006 18007906
	v_exp_f32_e32 v4, v4                                       // 00000000F344: 7E084104
	v_exp_f32_e32 v5, v5                                       // 00000000F348: 7E0A4105
	v_exp_f32_e32 v6, v6                                       // 00000000F34C: 7E0C4106
	v_exp_f32_e32 v7, v7                                       // 00000000F350: 7E0E4107
	v_add_f32_e64 v4, v4, 1.0                                  // 00000000F354: D1010004 0001E504
	v_add_f32_e64 v5, v5, 1.0                                  // 00000000F35C: D1010005 0001E505
	v_add_f32_e64 v6, v6, 1.0                                  // 00000000F364: D1010006 0001E506
	v_add_f32_e64 v7, v7, 1.0                                  // 00000000F36C: D1010007 0001E507
	v_rcp_f32_e32 v4, v4                                       // 00000000F374: 7E084504
	v_rcp_f32_e32 v5, v5                                       // 00000000F378: 7E0A4505
	v_rcp_f32_e32 v6, v6                                       // 00000000F37C: 7E0C4506
	v_rcp_f32_e32 v7, v7                                       // 00000000F380: 7E0E4507
	v_mul_f32_e32 v104, v104, v4                               // 00000000F384: 0AD00968
	v_mul_f32_e32 v105, v105, v5                               // 00000000F388: 0AD20B69
	v_mul_f32_e32 v106, v106, v6                               // 00000000F38C: 0AD40D6A
	v_mul_f32_e32 v107, v107, v7                               // 00000000F390: 0AD60F6B
	v_mul_f32_e32 v104, v104, v200                             // 00000000F394: 0AD19168
	v_mul_f32_e32 v105, v105, v201                             // 00000000F398: 0AD39369
	v_mul_f32_e32 v106, v106, v202                             // 00000000F39C: 0AD5956A
	v_mul_f32_e32 v107, v107, v203                             // 00000000F3A0: 0AD7976B
	v_pk_mul_f32 v[4:5], v[108:109], v[108:109]                // 00000000F3A4: D3B14004 1802D96C
	v_pk_mul_f32 v[6:7], v[110:111], v[110:111]                // 00000000F3AC: D3B14006 1802DD6E
	v_pk_fma_f32 v[4:5], v[4:5], s[78:79], v[8:9]              // 00000000F3B4: D3B04004 1C209D04
	v_pk_fma_f32 v[6:7], v[6:7], s[78:79], v[8:9]              // 00000000F3BC: D3B04006 1C209D06
	v_pk_mul_f32 v[4:5], v[4:5], v[108:109]                    // 00000000F3C4: D3B14004 1802D904
	v_pk_mul_f32 v[6:7], v[6:7], v[110:111]                    // 00000000F3CC: D3B14006 1802DD06
	v_pk_mul_f32 v[4:5], v[4:5], s[60:61]                      // 00000000F3D4: D3B14004 18007904
	v_pk_mul_f32 v[6:7], v[6:7], s[60:61]                      // 00000000F3DC: D3B14006 18007906
	v_exp_f32_e32 v4, v4                                       // 00000000F3E4: 7E084104
	v_exp_f32_e32 v5, v5                                       // 00000000F3E8: 7E0A4105
	v_exp_f32_e32 v6, v6                                       // 00000000F3EC: 7E0C4106
	v_exp_f32_e32 v7, v7                                       // 00000000F3F0: 7E0E4107
	v_add_f32_e64 v4, v4, 1.0                                  // 00000000F3F4: D1010004 0001E504
	v_add_f32_e64 v5, v5, 1.0                                  // 00000000F3FC: D1010005 0001E505
	v_add_f32_e64 v6, v6, 1.0                                  // 00000000F404: D1010006 0001E506
	v_add_f32_e64 v7, v7, 1.0                                  // 00000000F40C: D1010007 0001E507
	v_rcp_f32_e32 v4, v4                                       // 00000000F414: 7E084504
	v_rcp_f32_e32 v5, v5                                       // 00000000F418: 7E0A4505
	v_rcp_f32_e32 v6, v6                                       // 00000000F41C: 7E0C4506
	v_rcp_f32_e32 v7, v7                                       // 00000000F420: 7E0E4507
	v_mul_f32_e32 v108, v108, v4                               // 00000000F424: 0AD8096C
	v_mul_f32_e32 v109, v109, v5                               // 00000000F428: 0ADA0B6D
	v_mul_f32_e32 v110, v110, v6                               // 00000000F42C: 0ADC0D6E
	v_mul_f32_e32 v111, v111, v7                               // 00000000F430: 0ADE0F6F
	v_mul_f32_e32 v108, v108, v204                             // 00000000F434: 0AD9996C
	v_mul_f32_e32 v109, v109, v205                             // 00000000F438: 0ADB9B6D
	v_mul_f32_e32 v110, v110, v206                             // 00000000F43C: 0ADD9D6E
	v_mul_f32_e32 v111, v111, v207                             // 00000000F440: 0ADF9F6F
	v_pk_mul_f32 v[4:5], v[112:113], v[112:113]                // 00000000F444: D3B14004 1802E170
	v_pk_mul_f32 v[6:7], v[114:115], v[114:115]                // 00000000F44C: D3B14006 1802E572
	v_pk_fma_f32 v[4:5], v[4:5], s[78:79], v[8:9]              // 00000000F454: D3B04004 1C209D04
	v_pk_fma_f32 v[6:7], v[6:7], s[78:79], v[8:9]              // 00000000F45C: D3B04006 1C209D06
	v_pk_mul_f32 v[4:5], v[4:5], v[112:113]                    // 00000000F464: D3B14004 1802E104
	v_pk_mul_f32 v[6:7], v[6:7], v[114:115]                    // 00000000F46C: D3B14006 1802E506
	v_pk_mul_f32 v[4:5], v[4:5], s[60:61]                      // 00000000F474: D3B14004 18007904
	v_pk_mul_f32 v[6:7], v[6:7], s[60:61]                      // 00000000F47C: D3B14006 18007906
	v_exp_f32_e32 v4, v4                                       // 00000000F484: 7E084104
	v_exp_f32_e32 v5, v5                                       // 00000000F488: 7E0A4105
	v_exp_f32_e32 v6, v6                                       // 00000000F48C: 7E0C4106
	v_exp_f32_e32 v7, v7                                       // 00000000F490: 7E0E4107
	v_add_f32_e64 v4, v4, 1.0                                  // 00000000F494: D1010004 0001E504
	v_add_f32_e64 v5, v5, 1.0                                  // 00000000F49C: D1010005 0001E505
	v_add_f32_e64 v6, v6, 1.0                                  // 00000000F4A4: D1010006 0001E506
	v_add_f32_e64 v7, v7, 1.0                                  // 00000000F4AC: D1010007 0001E507
	v_rcp_f32_e32 v4, v4                                       // 00000000F4B4: 7E084504
	v_rcp_f32_e32 v5, v5                                       // 00000000F4B8: 7E0A4505
	v_rcp_f32_e32 v6, v6                                       // 00000000F4BC: 7E0C4506
	v_rcp_f32_e32 v7, v7                                       // 00000000F4C0: 7E0E4507
	v_mul_f32_e32 v112, v112, v4                               // 00000000F4C4: 0AE00970
	v_mul_f32_e32 v113, v113, v5                               // 00000000F4C8: 0AE20B71
	v_mul_f32_e32 v114, v114, v6                               // 00000000F4CC: 0AE40D72
	v_mul_f32_e32 v115, v115, v7                               // 00000000F4D0: 0AE60F73
	v_mul_f32_e32 v112, v112, v208                             // 00000000F4D4: 0AE1A170
	v_mul_f32_e32 v113, v113, v209                             // 00000000F4D8: 0AE3A371
	v_mul_f32_e32 v114, v114, v210                             // 00000000F4DC: 0AE5A572
	v_mul_f32_e32 v115, v115, v211                             // 00000000F4E0: 0AE7A773
	v_pk_mul_f32 v[4:5], v[116:117], v[116:117]                // 00000000F4E4: D3B14004 1802E974
	v_pk_mul_f32 v[6:7], v[118:119], v[118:119]                // 00000000F4EC: D3B14006 1802ED76
	v_pk_fma_f32 v[4:5], v[4:5], s[78:79], v[8:9]              // 00000000F4F4: D3B04004 1C209D04
	v_pk_fma_f32 v[6:7], v[6:7], s[78:79], v[8:9]              // 00000000F4FC: D3B04006 1C209D06
	v_pk_mul_f32 v[4:5], v[4:5], v[116:117]                    // 00000000F504: D3B14004 1802E904
	v_pk_mul_f32 v[6:7], v[6:7], v[118:119]                    // 00000000F50C: D3B14006 1802ED06
	v_pk_mul_f32 v[4:5], v[4:5], s[60:61]                      // 00000000F514: D3B14004 18007904
	v_pk_mul_f32 v[6:7], v[6:7], s[60:61]                      // 00000000F51C: D3B14006 18007906
	v_exp_f32_e32 v4, v4                                       // 00000000F524: 7E084104
	v_exp_f32_e32 v5, v5                                       // 00000000F528: 7E0A4105
	v_exp_f32_e32 v6, v6                                       // 00000000F52C: 7E0C4106
	v_exp_f32_e32 v7, v7                                       // 00000000F530: 7E0E4107
	v_add_f32_e64 v4, v4, 1.0                                  // 00000000F534: D1010004 0001E504
	v_add_f32_e64 v5, v5, 1.0                                  // 00000000F53C: D1010005 0001E505
	v_add_f32_e64 v6, v6, 1.0                                  // 00000000F544: D1010006 0001E506
	v_add_f32_e64 v7, v7, 1.0                                  // 00000000F54C: D1010007 0001E507
	v_rcp_f32_e32 v4, v4                                       // 00000000F554: 7E084504
	v_rcp_f32_e32 v5, v5                                       // 00000000F558: 7E0A4505
	v_rcp_f32_e32 v6, v6                                       // 00000000F55C: 7E0C4506
	v_rcp_f32_e32 v7, v7                                       // 00000000F560: 7E0E4507
	v_mul_f32_e32 v116, v116, v4                               // 00000000F564: 0AE80974
	v_mul_f32_e32 v117, v117, v5                               // 00000000F568: 0AEA0B75
	v_mul_f32_e32 v118, v118, v6                               // 00000000F56C: 0AEC0D76
	v_mul_f32_e32 v119, v119, v7                               // 00000000F570: 0AEE0F77
	v_mul_f32_e32 v116, v116, v212                             // 00000000F574: 0AE9A974
	v_mul_f32_e32 v117, v117, v213                             // 00000000F578: 0AEBAB75
	v_mul_f32_e32 v118, v118, v214                             // 00000000F57C: 0AEDAD76
	v_mul_f32_e32 v119, v119, v215                             // 00000000F580: 0AEFAF77
	v_pk_mul_f32 v[4:5], v[120:121], v[120:121]                // 00000000F584: D3B14004 1802F178
	v_pk_mul_f32 v[6:7], v[122:123], v[122:123]                // 00000000F58C: D3B14006 1802F57A
	v_pk_fma_f32 v[4:5], v[4:5], s[78:79], v[8:9]              // 00000000F594: D3B04004 1C209D04
	v_pk_fma_f32 v[6:7], v[6:7], s[78:79], v[8:9]              // 00000000F59C: D3B04006 1C209D06
	v_pk_mul_f32 v[4:5], v[4:5], v[120:121]                    // 00000000F5A4: D3B14004 1802F104
	v_pk_mul_f32 v[6:7], v[6:7], v[122:123]                    // 00000000F5AC: D3B14006 1802F506
	v_pk_mul_f32 v[4:5], v[4:5], s[60:61]                      // 00000000F5B4: D3B14004 18007904
	v_pk_mul_f32 v[6:7], v[6:7], s[60:61]                      // 00000000F5BC: D3B14006 18007906
	v_exp_f32_e32 v4, v4                                       // 00000000F5C4: 7E084104
	v_exp_f32_e32 v5, v5                                       // 00000000F5C8: 7E0A4105
	v_exp_f32_e32 v6, v6                                       // 00000000F5CC: 7E0C4106
	v_exp_f32_e32 v7, v7                                       // 00000000F5D0: 7E0E4107
	v_add_f32_e64 v4, v4, 1.0                                  // 00000000F5D4: D1010004 0001E504
	v_add_f32_e64 v5, v5, 1.0                                  // 00000000F5DC: D1010005 0001E505
	v_add_f32_e64 v6, v6, 1.0                                  // 00000000F5E4: D1010006 0001E506
	v_add_f32_e64 v7, v7, 1.0                                  // 00000000F5EC: D1010007 0001E507
	v_rcp_f32_e32 v4, v4                                       // 00000000F5F4: 7E084504
	v_rcp_f32_e32 v5, v5                                       // 00000000F5F8: 7E0A4505
	v_rcp_f32_e32 v6, v6                                       // 00000000F5FC: 7E0C4506
	v_rcp_f32_e32 v7, v7                                       // 00000000F600: 7E0E4507
	v_mul_f32_e32 v120, v120, v4                               // 00000000F604: 0AF00978
	v_mul_f32_e32 v121, v121, v5                               // 00000000F608: 0AF20B79
	v_mul_f32_e32 v122, v122, v6                               // 00000000F60C: 0AF40D7A
	v_mul_f32_e32 v123, v123, v7                               // 00000000F610: 0AF60F7B
	v_mul_f32_e32 v120, v120, v216                             // 00000000F614: 0AF1B178
	v_mul_f32_e32 v121, v121, v217                             // 00000000F618: 0AF3B379
	v_mul_f32_e32 v122, v122, v218                             // 00000000F61C: 0AF5B57A
	v_mul_f32_e32 v123, v123, v219                             // 00000000F620: 0AF7B77B
	v_pk_mul_f32 v[4:5], v[124:125], v[124:125]                // 00000000F624: D3B14004 1802F97C
	v_pk_mul_f32 v[6:7], v[126:127], v[126:127]                // 00000000F62C: D3B14006 1802FD7E
	v_pk_fma_f32 v[4:5], v[4:5], s[78:79], v[8:9]              // 00000000F634: D3B04004 1C209D04
	v_pk_fma_f32 v[6:7], v[6:7], s[78:79], v[8:9]              // 00000000F63C: D3B04006 1C209D06
	v_pk_mul_f32 v[4:5], v[4:5], v[124:125]                    // 00000000F644: D3B14004 1802F904
	v_pk_mul_f32 v[6:7], v[6:7], v[126:127]                    // 00000000F64C: D3B14006 1802FD06
	v_pk_mul_f32 v[4:5], v[4:5], s[60:61]                      // 00000000F654: D3B14004 18007904
	v_pk_mul_f32 v[6:7], v[6:7], s[60:61]                      // 00000000F65C: D3B14006 18007906
	v_exp_f32_e32 v4, v4                                       // 00000000F664: 7E084104
	v_exp_f32_e32 v5, v5                                       // 00000000F668: 7E0A4105
	v_exp_f32_e32 v6, v6                                       // 00000000F66C: 7E0C4106
	v_exp_f32_e32 v7, v7                                       // 00000000F670: 7E0E4107
	v_add_f32_e64 v4, v4, 1.0                                  // 00000000F674: D1010004 0001E504
	v_add_f32_e64 v5, v5, 1.0                                  // 00000000F67C: D1010005 0001E505
	v_add_f32_e64 v6, v6, 1.0                                  // 00000000F684: D1010006 0001E506
	v_add_f32_e64 v7, v7, 1.0                                  // 00000000F68C: D1010007 0001E507
	v_rcp_f32_e32 v4, v4                                       // 00000000F694: 7E084504
	v_rcp_f32_e32 v5, v5                                       // 00000000F698: 7E0A4505
	v_rcp_f32_e32 v6, v6                                       // 00000000F69C: 7E0C4506
	v_rcp_f32_e32 v7, v7                                       // 00000000F6A0: 7E0E4507
	v_mul_f32_e32 v124, v124, v4                               // 00000000F6A4: 0AF8097C
	v_mul_f32_e32 v125, v125, v5                               // 00000000F6A8: 0AFA0B7D
	v_mul_f32_e32 v126, v126, v6                               // 00000000F6AC: 0AFC0D7E
	v_mul_f32_e32 v127, v127, v7                               // 00000000F6B0: 0AFE0F7F
	v_mul_f32_e32 v124, v124, v220                             // 00000000F6B4: 0AF9B97C
	v_mul_f32_e32 v125, v125, v221                             // 00000000F6B8: 0AFBBB7D
	v_mul_f32_e32 v126, v126, v222                             // 00000000F6BC: 0AFDBD7E
	v_mul_f32_e32 v127, v127, v223                             // 00000000F6C0: 0AFFBF7F
	v_pk_mul_f32 v[4:5], v[128:129], v[128:129]                // 00000000F6C4: D3B14004 18030180
	v_pk_mul_f32 v[6:7], v[130:131], v[130:131]                // 00000000F6CC: D3B14006 18030582
	v_pk_fma_f32 v[4:5], v[4:5], s[78:79], v[8:9]              // 00000000F6D4: D3B04004 1C209D04
	v_pk_fma_f32 v[6:7], v[6:7], s[78:79], v[8:9]              // 00000000F6DC: D3B04006 1C209D06
	v_pk_mul_f32 v[4:5], v[4:5], v[128:129]                    // 00000000F6E4: D3B14004 18030104
	v_pk_mul_f32 v[6:7], v[6:7], v[130:131]                    // 00000000F6EC: D3B14006 18030506
	v_pk_mul_f32 v[4:5], v[4:5], s[60:61]                      // 00000000F6F4: D3B14004 18007904
	v_pk_mul_f32 v[6:7], v[6:7], s[60:61]                      // 00000000F6FC: D3B14006 18007906
	v_exp_f32_e32 v4, v4                                       // 00000000F704: 7E084104
	v_exp_f32_e32 v5, v5                                       // 00000000F708: 7E0A4105
	v_exp_f32_e32 v6, v6                                       // 00000000F70C: 7E0C4106
	v_exp_f32_e32 v7, v7                                       // 00000000F710: 7E0E4107
	v_add_f32_e64 v4, v4, 1.0                                  // 00000000F714: D1010004 0001E504
	v_add_f32_e64 v5, v5, 1.0                                  // 00000000F71C: D1010005 0001E505
	v_add_f32_e64 v6, v6, 1.0                                  // 00000000F724: D1010006 0001E506
	v_add_f32_e64 v7, v7, 1.0                                  // 00000000F72C: D1010007 0001E507
	v_rcp_f32_e32 v4, v4                                       // 00000000F734: 7E084504
	v_rcp_f32_e32 v5, v5                                       // 00000000F738: 7E0A4505
	v_rcp_f32_e32 v6, v6                                       // 00000000F73C: 7E0C4506
	v_rcp_f32_e32 v7, v7                                       // 00000000F740: 7E0E4507
	v_mul_f32_e32 v128, v128, v4                               // 00000000F744: 0B000980
	v_mul_f32_e32 v129, v129, v5                               // 00000000F748: 0B020B81
	v_mul_f32_e32 v130, v130, v6                               // 00000000F74C: 0B040D82
	v_mul_f32_e32 v131, v131, v7                               // 00000000F750: 0B060F83
	v_mul_f32_e32 v128, v128, v224                             // 00000000F754: 0B01C180
	v_mul_f32_e32 v129, v129, v225                             // 00000000F758: 0B03C381
	v_mul_f32_e32 v130, v130, v226                             // 00000000F75C: 0B05C582
	v_mul_f32_e32 v131, v131, v227                             // 00000000F760: 0B07C783
	v_pk_mul_f32 v[4:5], v[132:133], v[132:133]                // 00000000F764: D3B14004 18030984
	v_pk_mul_f32 v[6:7], v[134:135], v[134:135]                // 00000000F76C: D3B14006 18030D86
	v_pk_fma_f32 v[4:5], v[4:5], s[78:79], v[8:9]              // 00000000F774: D3B04004 1C209D04
	v_pk_fma_f32 v[6:7], v[6:7], s[78:79], v[8:9]              // 00000000F77C: D3B04006 1C209D06
	v_pk_mul_f32 v[4:5], v[4:5], v[132:133]                    // 00000000F784: D3B14004 18030904
	v_pk_mul_f32 v[6:7], v[6:7], v[134:135]                    // 00000000F78C: D3B14006 18030D06
	v_pk_mul_f32 v[4:5], v[4:5], s[60:61]                      // 00000000F794: D3B14004 18007904
	v_pk_mul_f32 v[6:7], v[6:7], s[60:61]                      // 00000000F79C: D3B14006 18007906
	v_exp_f32_e32 v4, v4                                       // 00000000F7A4: 7E084104
	v_exp_f32_e32 v5, v5                                       // 00000000F7A8: 7E0A4105
	v_exp_f32_e32 v6, v6                                       // 00000000F7AC: 7E0C4106
	v_exp_f32_e32 v7, v7                                       // 00000000F7B0: 7E0E4107
	v_add_f32_e64 v4, v4, 1.0                                  // 00000000F7B4: D1010004 0001E504
	v_add_f32_e64 v5, v5, 1.0                                  // 00000000F7BC: D1010005 0001E505
	v_add_f32_e64 v6, v6, 1.0                                  // 00000000F7C4: D1010006 0001E506
	v_add_f32_e64 v7, v7, 1.0                                  // 00000000F7CC: D1010007 0001E507
	v_rcp_f32_e32 v4, v4                                       // 00000000F7D4: 7E084504
	v_rcp_f32_e32 v5, v5                                       // 00000000F7D8: 7E0A4505
	v_rcp_f32_e32 v6, v6                                       // 00000000F7DC: 7E0C4506
	v_rcp_f32_e32 v7, v7                                       // 00000000F7E0: 7E0E4507
	v_mul_f32_e32 v132, v132, v4                               // 00000000F7E4: 0B080984
	v_mul_f32_e32 v133, v133, v5                               // 00000000F7E8: 0B0A0B85
	v_mul_f32_e32 v134, v134, v6                               // 00000000F7EC: 0B0C0D86
	v_mul_f32_e32 v135, v135, v7                               // 00000000F7F0: 0B0E0F87
	v_mul_f32_e32 v132, v132, v228                             // 00000000F7F4: 0B09C984
	v_mul_f32_e32 v133, v133, v229                             // 00000000F7F8: 0B0BCB85
	v_mul_f32_e32 v134, v134, v230                             // 00000000F7FC: 0B0DCD86
	v_mul_f32_e32 v135, v135, v231                             // 00000000F800: 0B0FCF87
	v_pk_mul_f32 v[4:5], v[136:137], v[136:137]                // 00000000F804: D3B14004 18031188
	v_pk_mul_f32 v[6:7], v[138:139], v[138:139]                // 00000000F80C: D3B14006 1803158A
	v_pk_fma_f32 v[4:5], v[4:5], s[78:79], v[8:9]              // 00000000F814: D3B04004 1C209D04
	v_pk_fma_f32 v[6:7], v[6:7], s[78:79], v[8:9]              // 00000000F81C: D3B04006 1C209D06
	v_pk_mul_f32 v[4:5], v[4:5], v[136:137]                    // 00000000F824: D3B14004 18031104
	v_pk_mul_f32 v[6:7], v[6:7], v[138:139]                    // 00000000F82C: D3B14006 18031506
	v_pk_mul_f32 v[4:5], v[4:5], s[60:61]                      // 00000000F834: D3B14004 18007904
	v_pk_mul_f32 v[6:7], v[6:7], s[60:61]                      // 00000000F83C: D3B14006 18007906
	v_exp_f32_e32 v4, v4                                       // 00000000F844: 7E084104
	v_exp_f32_e32 v5, v5                                       // 00000000F848: 7E0A4105
	v_exp_f32_e32 v6, v6                                       // 00000000F84C: 7E0C4106
	v_exp_f32_e32 v7, v7                                       // 00000000F850: 7E0E4107
	v_add_f32_e64 v4, v4, 1.0                                  // 00000000F854: D1010004 0001E504
	v_add_f32_e64 v5, v5, 1.0                                  // 00000000F85C: D1010005 0001E505
	v_add_f32_e64 v6, v6, 1.0                                  // 00000000F864: D1010006 0001E506
	v_add_f32_e64 v7, v7, 1.0                                  // 00000000F86C: D1010007 0001E507
	v_rcp_f32_e32 v4, v4                                       // 00000000F874: 7E084504
	v_rcp_f32_e32 v5, v5                                       // 00000000F878: 7E0A4505
	v_rcp_f32_e32 v6, v6                                       // 00000000F87C: 7E0C4506
	v_rcp_f32_e32 v7, v7                                       // 00000000F880: 7E0E4507
	v_mul_f32_e32 v136, v136, v4                               // 00000000F884: 0B100988
	v_mul_f32_e32 v137, v137, v5                               // 00000000F888: 0B120B89
	v_mul_f32_e32 v138, v138, v6                               // 00000000F88C: 0B140D8A
	v_mul_f32_e32 v139, v139, v7                               // 00000000F890: 0B160F8B
	v_mul_f32_e32 v136, v136, v232                             // 00000000F894: 0B11D188
	v_mul_f32_e32 v137, v137, v233                             // 00000000F898: 0B13D389
	v_mul_f32_e32 v138, v138, v234                             // 00000000F89C: 0B15D58A
	v_mul_f32_e32 v139, v139, v235                             // 00000000F8A0: 0B17D78B
	v_pk_mul_f32 v[4:5], v[140:141], v[140:141]                // 00000000F8A4: D3B14004 1803198C
	v_pk_mul_f32 v[6:7], v[142:143], v[142:143]                // 00000000F8AC: D3B14006 18031D8E
	v_pk_fma_f32 v[4:5], v[4:5], s[78:79], v[8:9]              // 00000000F8B4: D3B04004 1C209D04
	v_pk_fma_f32 v[6:7], v[6:7], s[78:79], v[8:9]              // 00000000F8BC: D3B04006 1C209D06
	v_pk_mul_f32 v[4:5], v[4:5], v[140:141]                    // 00000000F8C4: D3B14004 18031904
	v_pk_mul_f32 v[6:7], v[6:7], v[142:143]                    // 00000000F8CC: D3B14006 18031D06
	v_pk_mul_f32 v[4:5], v[4:5], s[60:61]                      // 00000000F8D4: D3B14004 18007904
	v_pk_mul_f32 v[6:7], v[6:7], s[60:61]                      // 00000000F8DC: D3B14006 18007906
	v_exp_f32_e32 v4, v4                                       // 00000000F8E4: 7E084104
	v_exp_f32_e32 v5, v5                                       // 00000000F8E8: 7E0A4105
	v_exp_f32_e32 v6, v6                                       // 00000000F8EC: 7E0C4106
	v_exp_f32_e32 v7, v7                                       // 00000000F8F0: 7E0E4107
	v_add_f32_e64 v4, v4, 1.0                                  // 00000000F8F4: D1010004 0001E504
	v_add_f32_e64 v5, v5, 1.0                                  // 00000000F8FC: D1010005 0001E505
	v_add_f32_e64 v6, v6, 1.0                                  // 00000000F904: D1010006 0001E506
	v_add_f32_e64 v7, v7, 1.0                                  // 00000000F90C: D1010007 0001E507
	v_rcp_f32_e32 v4, v4                                       // 00000000F914: 7E084504
	v_rcp_f32_e32 v5, v5                                       // 00000000F918: 7E0A4505
	v_rcp_f32_e32 v6, v6                                       // 00000000F91C: 7E0C4506
	v_rcp_f32_e32 v7, v7                                       // 00000000F920: 7E0E4507
	v_mul_f32_e32 v140, v140, v4                               // 00000000F924: 0B18098C
	v_mul_f32_e32 v141, v141, v5                               // 00000000F928: 0B1A0B8D
	v_mul_f32_e32 v142, v142, v6                               // 00000000F92C: 0B1C0D8E
	v_mul_f32_e32 v143, v143, v7                               // 00000000F930: 0B1E0F8F
	v_mul_f32_e32 v140, v140, v236                             // 00000000F934: 0B19D98C
	v_mul_f32_e32 v141, v141, v237                             // 00000000F938: 0B1BDB8D
	v_mul_f32_e32 v142, v142, v238                             // 00000000F93C: 0B1DDD8E
	v_mul_f32_e32 v143, v143, v239                             // 00000000F940: 0B1FDF8F
	v_pk_mul_f32 v[4:5], v[144:145], v[144:145]                // 00000000F944: D3B14004 18032190
	v_pk_mul_f32 v[6:7], v[146:147], v[146:147]                // 00000000F94C: D3B14006 18032592
	v_pk_fma_f32 v[4:5], v[4:5], s[78:79], v[8:9]              // 00000000F954: D3B04004 1C209D04
	v_pk_fma_f32 v[6:7], v[6:7], s[78:79], v[8:9]              // 00000000F95C: D3B04006 1C209D06
	v_pk_mul_f32 v[4:5], v[4:5], v[144:145]                    // 00000000F964: D3B14004 18032104
	v_pk_mul_f32 v[6:7], v[6:7], v[146:147]                    // 00000000F96C: D3B14006 18032506
	v_pk_mul_f32 v[4:5], v[4:5], s[60:61]                      // 00000000F974: D3B14004 18007904
	v_pk_mul_f32 v[6:7], v[6:7], s[60:61]                      // 00000000F97C: D3B14006 18007906
	v_exp_f32_e32 v4, v4                                       // 00000000F984: 7E084104
	v_exp_f32_e32 v5, v5                                       // 00000000F988: 7E0A4105
	v_exp_f32_e32 v6, v6                                       // 00000000F98C: 7E0C4106
	v_exp_f32_e32 v7, v7                                       // 00000000F990: 7E0E4107
	v_add_f32_e64 v4, v4, 1.0                                  // 00000000F994: D1010004 0001E504
	v_add_f32_e64 v5, v5, 1.0                                  // 00000000F99C: D1010005 0001E505
	v_add_f32_e64 v6, v6, 1.0                                  // 00000000F9A4: D1010006 0001E506
	v_add_f32_e64 v7, v7, 1.0                                  // 00000000F9AC: D1010007 0001E507
	v_rcp_f32_e32 v4, v4                                       // 00000000F9B4: 7E084504
	v_rcp_f32_e32 v5, v5                                       // 00000000F9B8: 7E0A4505
	v_rcp_f32_e32 v6, v6                                       // 00000000F9BC: 7E0C4506
	v_rcp_f32_e32 v7, v7                                       // 00000000F9C0: 7E0E4507
	v_mul_f32_e32 v144, v144, v4                               // 00000000F9C4: 0B200990
	v_mul_f32_e32 v145, v145, v5                               // 00000000F9C8: 0B220B91
	v_mul_f32_e32 v146, v146, v6                               // 00000000F9CC: 0B240D92
	v_mul_f32_e32 v147, v147, v7                               // 00000000F9D0: 0B260F93
	v_mul_f32_e32 v144, v144, v240                             // 00000000F9D4: 0B21E190
	v_mul_f32_e32 v145, v145, v241                             // 00000000F9D8: 0B23E391
	v_mul_f32_e32 v146, v146, v242                             // 00000000F9DC: 0B25E592
	v_mul_f32_e32 v147, v147, v243                             // 00000000F9E0: 0B27E793
	v_pk_mul_f32 v[4:5], v[148:149], v[148:149]                // 00000000F9E4: D3B14004 18032994
	v_pk_mul_f32 v[6:7], v[150:151], v[150:151]                // 00000000F9EC: D3B14006 18032D96
	v_pk_fma_f32 v[4:5], v[4:5], s[78:79], v[8:9]              // 00000000F9F4: D3B04004 1C209D04
	v_pk_fma_f32 v[6:7], v[6:7], s[78:79], v[8:9]              // 00000000F9FC: D3B04006 1C209D06
	v_pk_mul_f32 v[4:5], v[4:5], v[148:149]                    // 00000000FA04: D3B14004 18032904
	v_pk_mul_f32 v[6:7], v[6:7], v[150:151]                    // 00000000FA0C: D3B14006 18032D06
	v_pk_mul_f32 v[4:5], v[4:5], s[60:61]                      // 00000000FA14: D3B14004 18007904
	v_pk_mul_f32 v[6:7], v[6:7], s[60:61]                      // 00000000FA1C: D3B14006 18007906
	v_exp_f32_e32 v4, v4                                       // 00000000FA24: 7E084104
	v_exp_f32_e32 v5, v5                                       // 00000000FA28: 7E0A4105
	v_exp_f32_e32 v6, v6                                       // 00000000FA2C: 7E0C4106
	v_exp_f32_e32 v7, v7                                       // 00000000FA30: 7E0E4107
	v_add_f32_e64 v4, v4, 1.0                                  // 00000000FA34: D1010004 0001E504
	v_add_f32_e64 v5, v5, 1.0                                  // 00000000FA3C: D1010005 0001E505
	v_add_f32_e64 v6, v6, 1.0                                  // 00000000FA44: D1010006 0001E506
	v_add_f32_e64 v7, v7, 1.0                                  // 00000000FA4C: D1010007 0001E507
	v_rcp_f32_e32 v4, v4                                       // 00000000FA54: 7E084504
	v_rcp_f32_e32 v5, v5                                       // 00000000FA58: 7E0A4505
	v_rcp_f32_e32 v6, v6                                       // 00000000FA5C: 7E0C4506
	v_rcp_f32_e32 v7, v7                                       // 00000000FA60: 7E0E4507
	v_mul_f32_e32 v148, v148, v4                               // 00000000FA64: 0B280994
	v_mul_f32_e32 v149, v149, v5                               // 00000000FA68: 0B2A0B95
	v_mul_f32_e32 v150, v150, v6                               // 00000000FA6C: 0B2C0D96
	v_mul_f32_e32 v151, v151, v7                               // 00000000FA70: 0B2E0F97
	v_mul_f32_e32 v148, v148, v244                             // 00000000FA74: 0B29E994
	v_mul_f32_e32 v149, v149, v245                             // 00000000FA78: 0B2BEB95
	v_mul_f32_e32 v150, v150, v246                             // 00000000FA7C: 0B2DED96
	v_mul_f32_e32 v151, v151, v247                             // 00000000FA80: 0B2FEF97
	v_pk_mul_f32 v[4:5], v[152:153], v[152:153]                // 00000000FA84: D3B14004 18033198
	v_pk_mul_f32 v[6:7], v[154:155], v[154:155]                // 00000000FA8C: D3B14006 1803359A
	v_pk_fma_f32 v[4:5], v[4:5], s[78:79], v[8:9]              // 00000000FA94: D3B04004 1C209D04
	v_pk_fma_f32 v[6:7], v[6:7], s[78:79], v[8:9]              // 00000000FA9C: D3B04006 1C209D06
	v_pk_mul_f32 v[4:5], v[4:5], v[152:153]                    // 00000000FAA4: D3B14004 18033104
	v_pk_mul_f32 v[6:7], v[6:7], v[154:155]                    // 00000000FAAC: D3B14006 18033506
	v_pk_mul_f32 v[4:5], v[4:5], s[60:61]                      // 00000000FAB4: D3B14004 18007904
	v_pk_mul_f32 v[6:7], v[6:7], s[60:61]                      // 00000000FABC: D3B14006 18007906
	v_exp_f32_e32 v4, v4                                       // 00000000FAC4: 7E084104
	v_exp_f32_e32 v5, v5                                       // 00000000FAC8: 7E0A4105
	v_exp_f32_e32 v6, v6                                       // 00000000FACC: 7E0C4106
	v_exp_f32_e32 v7, v7                                       // 00000000FAD0: 7E0E4107
	v_add_f32_e64 v4, v4, 1.0                                  // 00000000FAD4: D1010004 0001E504
	v_add_f32_e64 v5, v5, 1.0                                  // 00000000FADC: D1010005 0001E505
	v_add_f32_e64 v6, v6, 1.0                                  // 00000000FAE4: D1010006 0001E506
	v_add_f32_e64 v7, v7, 1.0                                  // 00000000FAEC: D1010007 0001E507
	v_rcp_f32_e32 v4, v4                                       // 00000000FAF4: 7E084504
	v_rcp_f32_e32 v5, v5                                       // 00000000FAF8: 7E0A4505
	v_rcp_f32_e32 v6, v6                                       // 00000000FAFC: 7E0C4506
	v_rcp_f32_e32 v7, v7                                       // 00000000FB00: 7E0E4507
	v_mul_f32_e32 v152, v152, v4                               // 00000000FB04: 0B300998
	v_mul_f32_e32 v153, v153, v5                               // 00000000FB08: 0B320B99
	v_mul_f32_e32 v154, v154, v6                               // 00000000FB0C: 0B340D9A
	v_mul_f32_e32 v155, v155, v7                               // 00000000FB10: 0B360F9B
	v_mul_f32_e32 v152, v152, v248                             // 00000000FB14: 0B31F198
	v_mul_f32_e32 v153, v153, v249                             // 00000000FB18: 0B33F399
	v_mul_f32_e32 v154, v154, v250                             // 00000000FB1C: 0B35F59A
	v_mul_f32_e32 v155, v155, v251                             // 00000000FB20: 0B37F79B
	s_branch label_374D                                        // 00000000FB24: BF820300

000000000000fb28 <label_344D>:
	v_mul_f32_e64 v4, -v60, s6                                 // 00000000FB28: D1050004 20000D3C
	v_mul_f32_e64 v5, -v61, s6                                 // 00000000FB30: D1050005 20000D3D
	v_mul_f32_e64 v6, -v62, s6                                 // 00000000FB38: D1050006 20000D3E
	v_mul_f32_e64 v7, -v63, s6                                 // 00000000FB40: D1050007 20000D3F
	v_exp_f32_e32 v4, v4                                       // 00000000FB48: 7E084104
	v_exp_f32_e32 v5, v5                                       // 00000000FB4C: 7E0A4105
	v_exp_f32_e32 v6, v6                                       // 00000000FB50: 7E0C4106
	v_exp_f32_e32 v7, v7                                       // 00000000FB54: 7E0E4107
	v_add_f32_e64 v4, v4, 1.0                                  // 00000000FB58: D1010004 0001E504
	v_add_f32_e64 v5, v5, 1.0                                  // 00000000FB60: D1010005 0001E505
	v_add_f32_e64 v6, v6, 1.0                                  // 00000000FB68: D1010006 0001E506
	v_add_f32_e64 v7, v7, 1.0                                  // 00000000FB70: D1010007 0001E507
	v_rcp_f32_e32 v4, v4                                       // 00000000FB78: 7E084504
	v_rcp_f32_e32 v5, v5                                       // 00000000FB7C: 7E0A4505
	v_rcp_f32_e32 v6, v6                                       // 00000000FB80: 7E0C4506
	v_rcp_f32_e32 v7, v7                                       // 00000000FB84: 7E0E4507
	v_mul_f32_e32 v60, v60, v4                                 // 00000000FB88: 0A78093C
	v_mul_f32_e32 v61, v61, v5                                 // 00000000FB8C: 0A7A0B3D
	v_mul_f32_e32 v62, v62, v6                                 // 00000000FB90: 0A7C0D3E
	v_mul_f32_e32 v63, v63, v7                                 // 00000000FB94: 0A7E0F3F
	v_mul_f32_e32 v60, v60, v156                               // 00000000FB98: 0A79393C
	v_mul_f32_e32 v61, v61, v157                               // 00000000FB9C: 0A7B3B3D
	v_mul_f32_e32 v62, v62, v158                               // 00000000FBA0: 0A7D3D3E
	v_mul_f32_e32 v63, v63, v159                               // 00000000FBA4: 0A7F3F3F
	v_mul_f32_e64 v4, -v64, s6                                 // 00000000FBA8: D1050004 20000D40
	v_mul_f32_e64 v5, -v65, s6                                 // 00000000FBB0: D1050005 20000D41
	v_mul_f32_e64 v6, -v66, s6                                 // 00000000FBB8: D1050006 20000D42
	v_mul_f32_e64 v7, -v67, s6                                 // 00000000FBC0: D1050007 20000D43
	v_exp_f32_e32 v4, v4                                       // 00000000FBC8: 7E084104
	v_exp_f32_e32 v5, v5                                       // 00000000FBCC: 7E0A4105
	v_exp_f32_e32 v6, v6                                       // 00000000FBD0: 7E0C4106
	v_exp_f32_e32 v7, v7                                       // 00000000FBD4: 7E0E4107
	v_add_f32_e64 v4, v4, 1.0                                  // 00000000FBD8: D1010004 0001E504
	v_add_f32_e64 v5, v5, 1.0                                  // 00000000FBE0: D1010005 0001E505
	v_add_f32_e64 v6, v6, 1.0                                  // 00000000FBE8: D1010006 0001E506
	v_add_f32_e64 v7, v7, 1.0                                  // 00000000FBF0: D1010007 0001E507
	v_rcp_f32_e32 v4, v4                                       // 00000000FBF8: 7E084504
	v_rcp_f32_e32 v5, v5                                       // 00000000FBFC: 7E0A4505
	v_rcp_f32_e32 v6, v6                                       // 00000000FC00: 7E0C4506
	v_rcp_f32_e32 v7, v7                                       // 00000000FC04: 7E0E4507
	v_mul_f32_e32 v64, v64, v4                                 // 00000000FC08: 0A800940
	v_mul_f32_e32 v65, v65, v5                                 // 00000000FC0C: 0A820B41
	v_mul_f32_e32 v66, v66, v6                                 // 00000000FC10: 0A840D42
	v_mul_f32_e32 v67, v67, v7                                 // 00000000FC14: 0A860F43
	v_mul_f32_e32 v64, v64, v160                               // 00000000FC18: 0A814140
	v_mul_f32_e32 v65, v65, v161                               // 00000000FC1C: 0A834341
	v_mul_f32_e32 v66, v66, v162                               // 00000000FC20: 0A854542
	v_mul_f32_e32 v67, v67, v163                               // 00000000FC24: 0A874743
	v_mul_f32_e64 v4, -v68, s6                                 // 00000000FC28: D1050004 20000D44
	v_mul_f32_e64 v5, -v69, s6                                 // 00000000FC30: D1050005 20000D45
	v_mul_f32_e64 v6, -v70, s6                                 // 00000000FC38: D1050006 20000D46
	v_mul_f32_e64 v7, -v71, s6                                 // 00000000FC40: D1050007 20000D47
	v_exp_f32_e32 v4, v4                                       // 00000000FC48: 7E084104
	v_exp_f32_e32 v5, v5                                       // 00000000FC4C: 7E0A4105
	v_exp_f32_e32 v6, v6                                       // 00000000FC50: 7E0C4106
	v_exp_f32_e32 v7, v7                                       // 00000000FC54: 7E0E4107
	v_add_f32_e64 v4, v4, 1.0                                  // 00000000FC58: D1010004 0001E504
	v_add_f32_e64 v5, v5, 1.0                                  // 00000000FC60: D1010005 0001E505
	v_add_f32_e64 v6, v6, 1.0                                  // 00000000FC68: D1010006 0001E506
	v_add_f32_e64 v7, v7, 1.0                                  // 00000000FC70: D1010007 0001E507
	v_rcp_f32_e32 v4, v4                                       // 00000000FC78: 7E084504
	v_rcp_f32_e32 v5, v5                                       // 00000000FC7C: 7E0A4505
	v_rcp_f32_e32 v6, v6                                       // 00000000FC80: 7E0C4506
	v_rcp_f32_e32 v7, v7                                       // 00000000FC84: 7E0E4507
	v_mul_f32_e32 v68, v68, v4                                 // 00000000FC88: 0A880944
	v_mul_f32_e32 v69, v69, v5                                 // 00000000FC8C: 0A8A0B45
	v_mul_f32_e32 v70, v70, v6                                 // 00000000FC90: 0A8C0D46
	v_mul_f32_e32 v71, v71, v7                                 // 00000000FC94: 0A8E0F47
	v_mul_f32_e32 v68, v68, v164                               // 00000000FC98: 0A894944
	v_mul_f32_e32 v69, v69, v165                               // 00000000FC9C: 0A8B4B45
	v_mul_f32_e32 v70, v70, v166                               // 00000000FCA0: 0A8D4D46
	v_mul_f32_e32 v71, v71, v167                               // 00000000FCA4: 0A8F4F47
	v_mul_f32_e64 v4, -v72, s6                                 // 00000000FCA8: D1050004 20000D48
	v_mul_f32_e64 v5, -v73, s6                                 // 00000000FCB0: D1050005 20000D49
	v_mul_f32_e64 v6, -v74, s6                                 // 00000000FCB8: D1050006 20000D4A
	v_mul_f32_e64 v7, -v75, s6                                 // 00000000FCC0: D1050007 20000D4B
	v_exp_f32_e32 v4, v4                                       // 00000000FCC8: 7E084104
	v_exp_f32_e32 v5, v5                                       // 00000000FCCC: 7E0A4105
	v_exp_f32_e32 v6, v6                                       // 00000000FCD0: 7E0C4106
	v_exp_f32_e32 v7, v7                                       // 00000000FCD4: 7E0E4107
	v_add_f32_e64 v4, v4, 1.0                                  // 00000000FCD8: D1010004 0001E504
	v_add_f32_e64 v5, v5, 1.0                                  // 00000000FCE0: D1010005 0001E505
	v_add_f32_e64 v6, v6, 1.0                                  // 00000000FCE8: D1010006 0001E506
	v_add_f32_e64 v7, v7, 1.0                                  // 00000000FCF0: D1010007 0001E507
	v_rcp_f32_e32 v4, v4                                       // 00000000FCF8: 7E084504
	v_rcp_f32_e32 v5, v5                                       // 00000000FCFC: 7E0A4505
	v_rcp_f32_e32 v6, v6                                       // 00000000FD00: 7E0C4506
	v_rcp_f32_e32 v7, v7                                       // 00000000FD04: 7E0E4507
	v_mul_f32_e32 v72, v72, v4                                 // 00000000FD08: 0A900948
	v_mul_f32_e32 v73, v73, v5                                 // 00000000FD0C: 0A920B49
	v_mul_f32_e32 v74, v74, v6                                 // 00000000FD10: 0A940D4A
	v_mul_f32_e32 v75, v75, v7                                 // 00000000FD14: 0A960F4B
	v_mul_f32_e32 v72, v72, v168                               // 00000000FD18: 0A915148
	v_mul_f32_e32 v73, v73, v169                               // 00000000FD1C: 0A935349
	v_mul_f32_e32 v74, v74, v170                               // 00000000FD20: 0A95554A
	v_mul_f32_e32 v75, v75, v171                               // 00000000FD24: 0A97574B
	v_mul_f32_e64 v4, -v76, s6                                 // 00000000FD28: D1050004 20000D4C
	v_mul_f32_e64 v5, -v77, s6                                 // 00000000FD30: D1050005 20000D4D
	v_mul_f32_e64 v6, -v78, s6                                 // 00000000FD38: D1050006 20000D4E
	v_mul_f32_e64 v7, -v79, s6                                 // 00000000FD40: D1050007 20000D4F
	v_exp_f32_e32 v4, v4                                       // 00000000FD48: 7E084104
	v_exp_f32_e32 v5, v5                                       // 00000000FD4C: 7E0A4105
	v_exp_f32_e32 v6, v6                                       // 00000000FD50: 7E0C4106
	v_exp_f32_e32 v7, v7                                       // 00000000FD54: 7E0E4107
	v_add_f32_e64 v4, v4, 1.0                                  // 00000000FD58: D1010004 0001E504
	v_add_f32_e64 v5, v5, 1.0                                  // 00000000FD60: D1010005 0001E505
	v_add_f32_e64 v6, v6, 1.0                                  // 00000000FD68: D1010006 0001E506
	v_add_f32_e64 v7, v7, 1.0                                  // 00000000FD70: D1010007 0001E507
	v_rcp_f32_e32 v4, v4                                       // 00000000FD78: 7E084504
	v_rcp_f32_e32 v5, v5                                       // 00000000FD7C: 7E0A4505
	v_rcp_f32_e32 v6, v6                                       // 00000000FD80: 7E0C4506
	v_rcp_f32_e32 v7, v7                                       // 00000000FD84: 7E0E4507
	v_mul_f32_e32 v76, v76, v4                                 // 00000000FD88: 0A98094C
	v_mul_f32_e32 v77, v77, v5                                 // 00000000FD8C: 0A9A0B4D
	v_mul_f32_e32 v78, v78, v6                                 // 00000000FD90: 0A9C0D4E
	v_mul_f32_e32 v79, v79, v7                                 // 00000000FD94: 0A9E0F4F
	v_mul_f32_e32 v76, v76, v172                               // 00000000FD98: 0A99594C
	v_mul_f32_e32 v77, v77, v173                               // 00000000FD9C: 0A9B5B4D
	v_mul_f32_e32 v78, v78, v174                               // 00000000FDA0: 0A9D5D4E
	v_mul_f32_e32 v79, v79, v175                               // 00000000FDA4: 0A9F5F4F
	v_mul_f32_e64 v4, -v80, s6                                 // 00000000FDA8: D1050004 20000D50
	v_mul_f32_e64 v5, -v81, s6                                 // 00000000FDB0: D1050005 20000D51
	v_mul_f32_e64 v6, -v82, s6                                 // 00000000FDB8: D1050006 20000D52
	v_mul_f32_e64 v7, -v83, s6                                 // 00000000FDC0: D1050007 20000D53
	v_exp_f32_e32 v4, v4                                       // 00000000FDC8: 7E084104
	v_exp_f32_e32 v5, v5                                       // 00000000FDCC: 7E0A4105
	v_exp_f32_e32 v6, v6                                       // 00000000FDD0: 7E0C4106
	v_exp_f32_e32 v7, v7                                       // 00000000FDD4: 7E0E4107
	v_add_f32_e64 v4, v4, 1.0                                  // 00000000FDD8: D1010004 0001E504
	v_add_f32_e64 v5, v5, 1.0                                  // 00000000FDE0: D1010005 0001E505
	v_add_f32_e64 v6, v6, 1.0                                  // 00000000FDE8: D1010006 0001E506
	v_add_f32_e64 v7, v7, 1.0                                  // 00000000FDF0: D1010007 0001E507
	v_rcp_f32_e32 v4, v4                                       // 00000000FDF8: 7E084504
	v_rcp_f32_e32 v5, v5                                       // 00000000FDFC: 7E0A4505
	v_rcp_f32_e32 v6, v6                                       // 00000000FE00: 7E0C4506
	v_rcp_f32_e32 v7, v7                                       // 00000000FE04: 7E0E4507
	v_mul_f32_e32 v80, v80, v4                                 // 00000000FE08: 0AA00950
	v_mul_f32_e32 v81, v81, v5                                 // 00000000FE0C: 0AA20B51
	v_mul_f32_e32 v82, v82, v6                                 // 00000000FE10: 0AA40D52
	v_mul_f32_e32 v83, v83, v7                                 // 00000000FE14: 0AA60F53
	v_mul_f32_e32 v80, v80, v176                               // 00000000FE18: 0AA16150
	v_mul_f32_e32 v81, v81, v177                               // 00000000FE1C: 0AA36351
	v_mul_f32_e32 v82, v82, v178                               // 00000000FE20: 0AA56552
	v_mul_f32_e32 v83, v83, v179                               // 00000000FE24: 0AA76753
	v_mul_f32_e64 v4, -v84, s6                                 // 00000000FE28: D1050004 20000D54
	v_mul_f32_e64 v5, -v85, s6                                 // 00000000FE30: D1050005 20000D55
	v_mul_f32_e64 v6, -v86, s6                                 // 00000000FE38: D1050006 20000D56
	v_mul_f32_e64 v7, -v87, s6                                 // 00000000FE40: D1050007 20000D57
	v_exp_f32_e32 v4, v4                                       // 00000000FE48: 7E084104
	v_exp_f32_e32 v5, v5                                       // 00000000FE4C: 7E0A4105
	v_exp_f32_e32 v6, v6                                       // 00000000FE50: 7E0C4106
	v_exp_f32_e32 v7, v7                                       // 00000000FE54: 7E0E4107
	v_add_f32_e64 v4, v4, 1.0                                  // 00000000FE58: D1010004 0001E504
	v_add_f32_e64 v5, v5, 1.0                                  // 00000000FE60: D1010005 0001E505
	v_add_f32_e64 v6, v6, 1.0                                  // 00000000FE68: D1010006 0001E506
	v_add_f32_e64 v7, v7, 1.0                                  // 00000000FE70: D1010007 0001E507
	v_rcp_f32_e32 v4, v4                                       // 00000000FE78: 7E084504
	v_rcp_f32_e32 v5, v5                                       // 00000000FE7C: 7E0A4505
	v_rcp_f32_e32 v6, v6                                       // 00000000FE80: 7E0C4506
	v_rcp_f32_e32 v7, v7                                       // 00000000FE84: 7E0E4507
	v_mul_f32_e32 v84, v84, v4                                 // 00000000FE88: 0AA80954
	v_mul_f32_e32 v85, v85, v5                                 // 00000000FE8C: 0AAA0B55
	v_mul_f32_e32 v86, v86, v6                                 // 00000000FE90: 0AAC0D56
	v_mul_f32_e32 v87, v87, v7                                 // 00000000FE94: 0AAE0F57
	v_mul_f32_e32 v84, v84, v180                               // 00000000FE98: 0AA96954
	v_mul_f32_e32 v85, v85, v181                               // 00000000FE9C: 0AAB6B55
	v_mul_f32_e32 v86, v86, v182                               // 00000000FEA0: 0AAD6D56
	v_mul_f32_e32 v87, v87, v183                               // 00000000FEA4: 0AAF6F57
	v_mul_f32_e64 v4, -v88, s6                                 // 00000000FEA8: D1050004 20000D58
	v_mul_f32_e64 v5, -v89, s6                                 // 00000000FEB0: D1050005 20000D59
	v_mul_f32_e64 v6, -v90, s6                                 // 00000000FEB8: D1050006 20000D5A
	v_mul_f32_e64 v7, -v91, s6                                 // 00000000FEC0: D1050007 20000D5B
	v_exp_f32_e32 v4, v4                                       // 00000000FEC8: 7E084104
	v_exp_f32_e32 v5, v5                                       // 00000000FECC: 7E0A4105
	v_exp_f32_e32 v6, v6                                       // 00000000FED0: 7E0C4106
	v_exp_f32_e32 v7, v7                                       // 00000000FED4: 7E0E4107
	v_add_f32_e64 v4, v4, 1.0                                  // 00000000FED8: D1010004 0001E504
	v_add_f32_e64 v5, v5, 1.0                                  // 00000000FEE0: D1010005 0001E505
	v_add_f32_e64 v6, v6, 1.0                                  // 00000000FEE8: D1010006 0001E506
	v_add_f32_e64 v7, v7, 1.0                                  // 00000000FEF0: D1010007 0001E507
	v_rcp_f32_e32 v4, v4                                       // 00000000FEF8: 7E084504
	v_rcp_f32_e32 v5, v5                                       // 00000000FEFC: 7E0A4505
	v_rcp_f32_e32 v6, v6                                       // 00000000FF00: 7E0C4506
	v_rcp_f32_e32 v7, v7                                       // 00000000FF04: 7E0E4507
	v_mul_f32_e32 v88, v88, v4                                 // 00000000FF08: 0AB00958
	v_mul_f32_e32 v89, v89, v5                                 // 00000000FF0C: 0AB20B59
	v_mul_f32_e32 v90, v90, v6                                 // 00000000FF10: 0AB40D5A
	v_mul_f32_e32 v91, v91, v7                                 // 00000000FF14: 0AB60F5B
	v_mul_f32_e32 v88, v88, v184                               // 00000000FF18: 0AB17158
	v_mul_f32_e32 v89, v89, v185                               // 00000000FF1C: 0AB37359
	v_mul_f32_e32 v90, v90, v186                               // 00000000FF20: 0AB5755A
	v_mul_f32_e32 v91, v91, v187                               // 00000000FF24: 0AB7775B
	v_mul_f32_e64 v4, -v92, s6                                 // 00000000FF28: D1050004 20000D5C
	v_mul_f32_e64 v5, -v93, s6                                 // 00000000FF30: D1050005 20000D5D
	v_mul_f32_e64 v6, -v94, s6                                 // 00000000FF38: D1050006 20000D5E
	v_mul_f32_e64 v7, -v95, s6                                 // 00000000FF40: D1050007 20000D5F
	v_exp_f32_e32 v4, v4                                       // 00000000FF48: 7E084104
	v_exp_f32_e32 v5, v5                                       // 00000000FF4C: 7E0A4105
	v_exp_f32_e32 v6, v6                                       // 00000000FF50: 7E0C4106
	v_exp_f32_e32 v7, v7                                       // 00000000FF54: 7E0E4107
	v_add_f32_e64 v4, v4, 1.0                                  // 00000000FF58: D1010004 0001E504
	v_add_f32_e64 v5, v5, 1.0                                  // 00000000FF60: D1010005 0001E505
	v_add_f32_e64 v6, v6, 1.0                                  // 00000000FF68: D1010006 0001E506
	v_add_f32_e64 v7, v7, 1.0                                  // 00000000FF70: D1010007 0001E507
	v_rcp_f32_e32 v4, v4                                       // 00000000FF78: 7E084504
	v_rcp_f32_e32 v5, v5                                       // 00000000FF7C: 7E0A4505
	v_rcp_f32_e32 v6, v6                                       // 00000000FF80: 7E0C4506
	v_rcp_f32_e32 v7, v7                                       // 00000000FF84: 7E0E4507
	v_mul_f32_e32 v92, v92, v4                                 // 00000000FF88: 0AB8095C
	v_mul_f32_e32 v93, v93, v5                                 // 00000000FF8C: 0ABA0B5D
	v_mul_f32_e32 v94, v94, v6                                 // 00000000FF90: 0ABC0D5E
	v_mul_f32_e32 v95, v95, v7                                 // 00000000FF94: 0ABE0F5F
	v_mul_f32_e32 v92, v92, v188                               // 00000000FF98: 0AB9795C
	v_mul_f32_e32 v93, v93, v189                               // 00000000FF9C: 0ABB7B5D
	v_mul_f32_e32 v94, v94, v190                               // 00000000FFA0: 0ABD7D5E
	v_mul_f32_e32 v95, v95, v191                               // 00000000FFA4: 0ABF7F5F
	v_mul_f32_e64 v4, -v96, s6                                 // 00000000FFA8: D1050004 20000D60
	v_mul_f32_e64 v5, -v97, s6                                 // 00000000FFB0: D1050005 20000D61
	v_mul_f32_e64 v6, -v98, s6                                 // 00000000FFB8: D1050006 20000D62
	v_mul_f32_e64 v7, -v99, s6                                 // 00000000FFC0: D1050007 20000D63
	v_exp_f32_e32 v4, v4                                       // 00000000FFC8: 7E084104
	v_exp_f32_e32 v5, v5                                       // 00000000FFCC: 7E0A4105
	v_exp_f32_e32 v6, v6                                       // 00000000FFD0: 7E0C4106
	v_exp_f32_e32 v7, v7                                       // 00000000FFD4: 7E0E4107
	v_add_f32_e64 v4, v4, 1.0                                  // 00000000FFD8: D1010004 0001E504
	v_add_f32_e64 v5, v5, 1.0                                  // 00000000FFE0: D1010005 0001E505
	v_add_f32_e64 v6, v6, 1.0                                  // 00000000FFE8: D1010006 0001E506
	v_add_f32_e64 v7, v7, 1.0                                  // 00000000FFF0: D1010007 0001E507
	v_rcp_f32_e32 v4, v4                                       // 00000000FFF8: 7E084504
	v_rcp_f32_e32 v5, v5                                       // 00000000FFFC: 7E0A4505
	v_rcp_f32_e32 v6, v6                                       // 000000010000: 7E0C4506
	v_rcp_f32_e32 v7, v7                                       // 000000010004: 7E0E4507
	v_mul_f32_e32 v96, v96, v4                                 // 000000010008: 0AC00960
	v_mul_f32_e32 v97, v97, v5                                 // 00000001000C: 0AC20B61
	v_mul_f32_e32 v98, v98, v6                                 // 000000010010: 0AC40D62
	v_mul_f32_e32 v99, v99, v7                                 // 000000010014: 0AC60F63
	v_mul_f32_e32 v96, v96, v192                               // 000000010018: 0AC18160
	v_mul_f32_e32 v97, v97, v193                               // 00000001001C: 0AC38361
	v_mul_f32_e32 v98, v98, v194                               // 000000010020: 0AC58562
	v_mul_f32_e32 v99, v99, v195                               // 000000010024: 0AC78763
	v_mul_f32_e64 v4, -v100, s6                                // 000000010028: D1050004 20000D64
	v_mul_f32_e64 v5, -v101, s6                                // 000000010030: D1050005 20000D65
	v_mul_f32_e64 v6, -v102, s6                                // 000000010038: D1050006 20000D66
	v_mul_f32_e64 v7, -v103, s6                                // 000000010040: D1050007 20000D67
	v_exp_f32_e32 v4, v4                                       // 000000010048: 7E084104
	v_exp_f32_e32 v5, v5                                       // 00000001004C: 7E0A4105
	v_exp_f32_e32 v6, v6                                       // 000000010050: 7E0C4106
	v_exp_f32_e32 v7, v7                                       // 000000010054: 7E0E4107
	v_add_f32_e64 v4, v4, 1.0                                  // 000000010058: D1010004 0001E504
	v_add_f32_e64 v5, v5, 1.0                                  // 000000010060: D1010005 0001E505
	v_add_f32_e64 v6, v6, 1.0                                  // 000000010068: D1010006 0001E506
	v_add_f32_e64 v7, v7, 1.0                                  // 000000010070: D1010007 0001E507
	v_rcp_f32_e32 v4, v4                                       // 000000010078: 7E084504
	v_rcp_f32_e32 v5, v5                                       // 00000001007C: 7E0A4505
	v_rcp_f32_e32 v6, v6                                       // 000000010080: 7E0C4506
	v_rcp_f32_e32 v7, v7                                       // 000000010084: 7E0E4507
	v_mul_f32_e32 v100, v100, v4                               // 000000010088: 0AC80964
	v_mul_f32_e32 v101, v101, v5                               // 00000001008C: 0ACA0B65
	v_mul_f32_e32 v102, v102, v6                               // 000000010090: 0ACC0D66
	v_mul_f32_e32 v103, v103, v7                               // 000000010094: 0ACE0F67
	v_mul_f32_e32 v100, v100, v196                             // 000000010098: 0AC98964
	v_mul_f32_e32 v101, v101, v197                             // 00000001009C: 0ACB8B65
	v_mul_f32_e32 v102, v102, v198                             // 0000000100A0: 0ACD8D66
	v_mul_f32_e32 v103, v103, v199                             // 0000000100A4: 0ACF8F67
	v_mul_f32_e64 v4, -v104, s6                                // 0000000100A8: D1050004 20000D68
	v_mul_f32_e64 v5, -v105, s6                                // 0000000100B0: D1050005 20000D69
	v_mul_f32_e64 v6, -v106, s6                                // 0000000100B8: D1050006 20000D6A
	v_mul_f32_e64 v7, -v107, s6                                // 0000000100C0: D1050007 20000D6B
	v_exp_f32_e32 v4, v4                                       // 0000000100C8: 7E084104
	v_exp_f32_e32 v5, v5                                       // 0000000100CC: 7E0A4105
	v_exp_f32_e32 v6, v6                                       // 0000000100D0: 7E0C4106
	v_exp_f32_e32 v7, v7                                       // 0000000100D4: 7E0E4107
	v_add_f32_e64 v4, v4, 1.0                                  // 0000000100D8: D1010004 0001E504
	v_add_f32_e64 v5, v5, 1.0                                  // 0000000100E0: D1010005 0001E505
	v_add_f32_e64 v6, v6, 1.0                                  // 0000000100E8: D1010006 0001E506
	v_add_f32_e64 v7, v7, 1.0                                  // 0000000100F0: D1010007 0001E507
	v_rcp_f32_e32 v4, v4                                       // 0000000100F8: 7E084504
	v_rcp_f32_e32 v5, v5                                       // 0000000100FC: 7E0A4505
	v_rcp_f32_e32 v6, v6                                       // 000000010100: 7E0C4506
	v_rcp_f32_e32 v7, v7                                       // 000000010104: 7E0E4507
	v_mul_f32_e32 v104, v104, v4                               // 000000010108: 0AD00968
	v_mul_f32_e32 v105, v105, v5                               // 00000001010C: 0AD20B69
	v_mul_f32_e32 v106, v106, v6                               // 000000010110: 0AD40D6A
	v_mul_f32_e32 v107, v107, v7                               // 000000010114: 0AD60F6B
	v_mul_f32_e32 v104, v104, v200                             // 000000010118: 0AD19168
	v_mul_f32_e32 v105, v105, v201                             // 00000001011C: 0AD39369
	v_mul_f32_e32 v106, v106, v202                             // 000000010120: 0AD5956A
	v_mul_f32_e32 v107, v107, v203                             // 000000010124: 0AD7976B
	v_mul_f32_e64 v4, -v108, s6                                // 000000010128: D1050004 20000D6C
	v_mul_f32_e64 v5, -v109, s6                                // 000000010130: D1050005 20000D6D
	v_mul_f32_e64 v6, -v110, s6                                // 000000010138: D1050006 20000D6E
	v_mul_f32_e64 v7, -v111, s6                                // 000000010140: D1050007 20000D6F
	v_exp_f32_e32 v4, v4                                       // 000000010148: 7E084104
	v_exp_f32_e32 v5, v5                                       // 00000001014C: 7E0A4105
	v_exp_f32_e32 v6, v6                                       // 000000010150: 7E0C4106
	v_exp_f32_e32 v7, v7                                       // 000000010154: 7E0E4107
	v_add_f32_e64 v4, v4, 1.0                                  // 000000010158: D1010004 0001E504
	v_add_f32_e64 v5, v5, 1.0                                  // 000000010160: D1010005 0001E505
	v_add_f32_e64 v6, v6, 1.0                                  // 000000010168: D1010006 0001E506
	v_add_f32_e64 v7, v7, 1.0                                  // 000000010170: D1010007 0001E507
	v_rcp_f32_e32 v4, v4                                       // 000000010178: 7E084504
	v_rcp_f32_e32 v5, v5                                       // 00000001017C: 7E0A4505
	v_rcp_f32_e32 v6, v6                                       // 000000010180: 7E0C4506
	v_rcp_f32_e32 v7, v7                                       // 000000010184: 7E0E4507
	v_mul_f32_e32 v108, v108, v4                               // 000000010188: 0AD8096C
	v_mul_f32_e32 v109, v109, v5                               // 00000001018C: 0ADA0B6D
	v_mul_f32_e32 v110, v110, v6                               // 000000010190: 0ADC0D6E
	v_mul_f32_e32 v111, v111, v7                               // 000000010194: 0ADE0F6F
	v_mul_f32_e32 v108, v108, v204                             // 000000010198: 0AD9996C
	v_mul_f32_e32 v109, v109, v205                             // 00000001019C: 0ADB9B6D
	v_mul_f32_e32 v110, v110, v206                             // 0000000101A0: 0ADD9D6E
	v_mul_f32_e32 v111, v111, v207                             // 0000000101A4: 0ADF9F6F
	v_mul_f32_e64 v4, -v112, s6                                // 0000000101A8: D1050004 20000D70
	v_mul_f32_e64 v5, -v113, s6                                // 0000000101B0: D1050005 20000D71
	v_mul_f32_e64 v6, -v114, s6                                // 0000000101B8: D1050006 20000D72
	v_mul_f32_e64 v7, -v115, s6                                // 0000000101C0: D1050007 20000D73
	v_exp_f32_e32 v4, v4                                       // 0000000101C8: 7E084104
	v_exp_f32_e32 v5, v5                                       // 0000000101CC: 7E0A4105
	v_exp_f32_e32 v6, v6                                       // 0000000101D0: 7E0C4106
	v_exp_f32_e32 v7, v7                                       // 0000000101D4: 7E0E4107
	v_add_f32_e64 v4, v4, 1.0                                  // 0000000101D8: D1010004 0001E504
	v_add_f32_e64 v5, v5, 1.0                                  // 0000000101E0: D1010005 0001E505
	v_add_f32_e64 v6, v6, 1.0                                  // 0000000101E8: D1010006 0001E506
	v_add_f32_e64 v7, v7, 1.0                                  // 0000000101F0: D1010007 0001E507
	v_rcp_f32_e32 v4, v4                                       // 0000000101F8: 7E084504
	v_rcp_f32_e32 v5, v5                                       // 0000000101FC: 7E0A4505
	v_rcp_f32_e32 v6, v6                                       // 000000010200: 7E0C4506
	v_rcp_f32_e32 v7, v7                                       // 000000010204: 7E0E4507
	v_mul_f32_e32 v112, v112, v4                               // 000000010208: 0AE00970
	v_mul_f32_e32 v113, v113, v5                               // 00000001020C: 0AE20B71
	v_mul_f32_e32 v114, v114, v6                               // 000000010210: 0AE40D72
	v_mul_f32_e32 v115, v115, v7                               // 000000010214: 0AE60F73
	v_mul_f32_e32 v112, v112, v208                             // 000000010218: 0AE1A170
	v_mul_f32_e32 v113, v113, v209                             // 00000001021C: 0AE3A371
	v_mul_f32_e32 v114, v114, v210                             // 000000010220: 0AE5A572
	v_mul_f32_e32 v115, v115, v211                             // 000000010224: 0AE7A773
	v_mul_f32_e64 v4, -v116, s6                                // 000000010228: D1050004 20000D74
	v_mul_f32_e64 v5, -v117, s6                                // 000000010230: D1050005 20000D75
	v_mul_f32_e64 v6, -v118, s6                                // 000000010238: D1050006 20000D76
	v_mul_f32_e64 v7, -v119, s6                                // 000000010240: D1050007 20000D77
	v_exp_f32_e32 v4, v4                                       // 000000010248: 7E084104
	v_exp_f32_e32 v5, v5                                       // 00000001024C: 7E0A4105
	v_exp_f32_e32 v6, v6                                       // 000000010250: 7E0C4106
	v_exp_f32_e32 v7, v7                                       // 000000010254: 7E0E4107
	v_add_f32_e64 v4, v4, 1.0                                  // 000000010258: D1010004 0001E504
	v_add_f32_e64 v5, v5, 1.0                                  // 000000010260: D1010005 0001E505
	v_add_f32_e64 v6, v6, 1.0                                  // 000000010268: D1010006 0001E506
	v_add_f32_e64 v7, v7, 1.0                                  // 000000010270: D1010007 0001E507
	v_rcp_f32_e32 v4, v4                                       // 000000010278: 7E084504
	v_rcp_f32_e32 v5, v5                                       // 00000001027C: 7E0A4505
	v_rcp_f32_e32 v6, v6                                       // 000000010280: 7E0C4506
	v_rcp_f32_e32 v7, v7                                       // 000000010284: 7E0E4507
	v_mul_f32_e32 v116, v116, v4                               // 000000010288: 0AE80974
	v_mul_f32_e32 v117, v117, v5                               // 00000001028C: 0AEA0B75
	v_mul_f32_e32 v118, v118, v6                               // 000000010290: 0AEC0D76
	v_mul_f32_e32 v119, v119, v7                               // 000000010294: 0AEE0F77
	v_mul_f32_e32 v116, v116, v212                             // 000000010298: 0AE9A974
	v_mul_f32_e32 v117, v117, v213                             // 00000001029C: 0AEBAB75
	v_mul_f32_e32 v118, v118, v214                             // 0000000102A0: 0AEDAD76
	v_mul_f32_e32 v119, v119, v215                             // 0000000102A4: 0AEFAF77
	v_mul_f32_e64 v4, -v120, s6                                // 0000000102A8: D1050004 20000D78
	v_mul_f32_e64 v5, -v121, s6                                // 0000000102B0: D1050005 20000D79
	v_mul_f32_e64 v6, -v122, s6                                // 0000000102B8: D1050006 20000D7A
	v_mul_f32_e64 v7, -v123, s6                                // 0000000102C0: D1050007 20000D7B
	v_exp_f32_e32 v4, v4                                       // 0000000102C8: 7E084104
	v_exp_f32_e32 v5, v5                                       // 0000000102CC: 7E0A4105
	v_exp_f32_e32 v6, v6                                       // 0000000102D0: 7E0C4106
	v_exp_f32_e32 v7, v7                                       // 0000000102D4: 7E0E4107
	v_add_f32_e64 v4, v4, 1.0                                  // 0000000102D8: D1010004 0001E504
	v_add_f32_e64 v5, v5, 1.0                                  // 0000000102E0: D1010005 0001E505
	v_add_f32_e64 v6, v6, 1.0                                  // 0000000102E8: D1010006 0001E506
	v_add_f32_e64 v7, v7, 1.0                                  // 0000000102F0: D1010007 0001E507
	v_rcp_f32_e32 v4, v4                                       // 0000000102F8: 7E084504
	v_rcp_f32_e32 v5, v5                                       // 0000000102FC: 7E0A4505
	v_rcp_f32_e32 v6, v6                                       // 000000010300: 7E0C4506
	v_rcp_f32_e32 v7, v7                                       // 000000010304: 7E0E4507
	v_mul_f32_e32 v120, v120, v4                               // 000000010308: 0AF00978
	v_mul_f32_e32 v121, v121, v5                               // 00000001030C: 0AF20B79
	v_mul_f32_e32 v122, v122, v6                               // 000000010310: 0AF40D7A
	v_mul_f32_e32 v123, v123, v7                               // 000000010314: 0AF60F7B
	v_mul_f32_e32 v120, v120, v216                             // 000000010318: 0AF1B178
	v_mul_f32_e32 v121, v121, v217                             // 00000001031C: 0AF3B379
	v_mul_f32_e32 v122, v122, v218                             // 000000010320: 0AF5B57A
	v_mul_f32_e32 v123, v123, v219                             // 000000010324: 0AF7B77B
	v_mul_f32_e64 v4, -v124, s6                                // 000000010328: D1050004 20000D7C
	v_mul_f32_e64 v5, -v125, s6                                // 000000010330: D1050005 20000D7D
	v_mul_f32_e64 v6, -v126, s6                                // 000000010338: D1050006 20000D7E
	v_mul_f32_e64 v7, -v127, s6                                // 000000010340: D1050007 20000D7F
	v_exp_f32_e32 v4, v4                                       // 000000010348: 7E084104
	v_exp_f32_e32 v5, v5                                       // 00000001034C: 7E0A4105
	v_exp_f32_e32 v6, v6                                       // 000000010350: 7E0C4106
	v_exp_f32_e32 v7, v7                                       // 000000010354: 7E0E4107
	v_add_f32_e64 v4, v4, 1.0                                  // 000000010358: D1010004 0001E504
	v_add_f32_e64 v5, v5, 1.0                                  // 000000010360: D1010005 0001E505
	v_add_f32_e64 v6, v6, 1.0                                  // 000000010368: D1010006 0001E506
	v_add_f32_e64 v7, v7, 1.0                                  // 000000010370: D1010007 0001E507
	v_rcp_f32_e32 v4, v4                                       // 000000010378: 7E084504
	v_rcp_f32_e32 v5, v5                                       // 00000001037C: 7E0A4505
	v_rcp_f32_e32 v6, v6                                       // 000000010380: 7E0C4506
	v_rcp_f32_e32 v7, v7                                       // 000000010384: 7E0E4507
	v_mul_f32_e32 v124, v124, v4                               // 000000010388: 0AF8097C
	v_mul_f32_e32 v125, v125, v5                               // 00000001038C: 0AFA0B7D
	v_mul_f32_e32 v126, v126, v6                               // 000000010390: 0AFC0D7E
	v_mul_f32_e32 v127, v127, v7                               // 000000010394: 0AFE0F7F
	v_mul_f32_e32 v124, v124, v220                             // 000000010398: 0AF9B97C
	v_mul_f32_e32 v125, v125, v221                             // 00000001039C: 0AFBBB7D
	v_mul_f32_e32 v126, v126, v222                             // 0000000103A0: 0AFDBD7E
	v_mul_f32_e32 v127, v127, v223                             // 0000000103A4: 0AFFBF7F
	v_mul_f32_e64 v4, -v128, s6                                // 0000000103A8: D1050004 20000D80
	v_mul_f32_e64 v5, -v129, s6                                // 0000000103B0: D1050005 20000D81
	v_mul_f32_e64 v6, -v130, s6                                // 0000000103B8: D1050006 20000D82
	v_mul_f32_e64 v7, -v131, s6                                // 0000000103C0: D1050007 20000D83
	v_exp_f32_e32 v4, v4                                       // 0000000103C8: 7E084104
	v_exp_f32_e32 v5, v5                                       // 0000000103CC: 7E0A4105
	v_exp_f32_e32 v6, v6                                       // 0000000103D0: 7E0C4106
	v_exp_f32_e32 v7, v7                                       // 0000000103D4: 7E0E4107
	v_add_f32_e64 v4, v4, 1.0                                  // 0000000103D8: D1010004 0001E504
	v_add_f32_e64 v5, v5, 1.0                                  // 0000000103E0: D1010005 0001E505
	v_add_f32_e64 v6, v6, 1.0                                  // 0000000103E8: D1010006 0001E506
	v_add_f32_e64 v7, v7, 1.0                                  // 0000000103F0: D1010007 0001E507
	v_rcp_f32_e32 v4, v4                                       // 0000000103F8: 7E084504
	v_rcp_f32_e32 v5, v5                                       // 0000000103FC: 7E0A4505
	v_rcp_f32_e32 v6, v6                                       // 000000010400: 7E0C4506
	v_rcp_f32_e32 v7, v7                                       // 000000010404: 7E0E4507
	v_mul_f32_e32 v128, v128, v4                               // 000000010408: 0B000980
	v_mul_f32_e32 v129, v129, v5                               // 00000001040C: 0B020B81
	v_mul_f32_e32 v130, v130, v6                               // 000000010410: 0B040D82
	v_mul_f32_e32 v131, v131, v7                               // 000000010414: 0B060F83
	v_mul_f32_e32 v128, v128, v224                             // 000000010418: 0B01C180
	v_mul_f32_e32 v129, v129, v225                             // 00000001041C: 0B03C381
	v_mul_f32_e32 v130, v130, v226                             // 000000010420: 0B05C582
	v_mul_f32_e32 v131, v131, v227                             // 000000010424: 0B07C783
	v_mul_f32_e64 v4, -v132, s6                                // 000000010428: D1050004 20000D84
	v_mul_f32_e64 v5, -v133, s6                                // 000000010430: D1050005 20000D85
	v_mul_f32_e64 v6, -v134, s6                                // 000000010438: D1050006 20000D86
	v_mul_f32_e64 v7, -v135, s6                                // 000000010440: D1050007 20000D87
	v_exp_f32_e32 v4, v4                                       // 000000010448: 7E084104
	v_exp_f32_e32 v5, v5                                       // 00000001044C: 7E0A4105
	v_exp_f32_e32 v6, v6                                       // 000000010450: 7E0C4106
	v_exp_f32_e32 v7, v7                                       // 000000010454: 7E0E4107
	v_add_f32_e64 v4, v4, 1.0                                  // 000000010458: D1010004 0001E504
	v_add_f32_e64 v5, v5, 1.0                                  // 000000010460: D1010005 0001E505
	v_add_f32_e64 v6, v6, 1.0                                  // 000000010468: D1010006 0001E506
	v_add_f32_e64 v7, v7, 1.0                                  // 000000010470: D1010007 0001E507
	v_rcp_f32_e32 v4, v4                                       // 000000010478: 7E084504
	v_rcp_f32_e32 v5, v5                                       // 00000001047C: 7E0A4505
	v_rcp_f32_e32 v6, v6                                       // 000000010480: 7E0C4506
	v_rcp_f32_e32 v7, v7                                       // 000000010484: 7E0E4507
	v_mul_f32_e32 v132, v132, v4                               // 000000010488: 0B080984
	v_mul_f32_e32 v133, v133, v5                               // 00000001048C: 0B0A0B85
	v_mul_f32_e32 v134, v134, v6                               // 000000010490: 0B0C0D86
	v_mul_f32_e32 v135, v135, v7                               // 000000010494: 0B0E0F87
	v_mul_f32_e32 v132, v132, v228                             // 000000010498: 0B09C984
	v_mul_f32_e32 v133, v133, v229                             // 00000001049C: 0B0BCB85
	v_mul_f32_e32 v134, v134, v230                             // 0000000104A0: 0B0DCD86
	v_mul_f32_e32 v135, v135, v231                             // 0000000104A4: 0B0FCF87
	v_mul_f32_e64 v4, -v136, s6                                // 0000000104A8: D1050004 20000D88
	v_mul_f32_e64 v5, -v137, s6                                // 0000000104B0: D1050005 20000D89
	v_mul_f32_e64 v6, -v138, s6                                // 0000000104B8: D1050006 20000D8A
	v_mul_f32_e64 v7, -v139, s6                                // 0000000104C0: D1050007 20000D8B
	v_exp_f32_e32 v4, v4                                       // 0000000104C8: 7E084104
	v_exp_f32_e32 v5, v5                                       // 0000000104CC: 7E0A4105
	v_exp_f32_e32 v6, v6                                       // 0000000104D0: 7E0C4106
	v_exp_f32_e32 v7, v7                                       // 0000000104D4: 7E0E4107
	v_add_f32_e64 v4, v4, 1.0                                  // 0000000104D8: D1010004 0001E504
	v_add_f32_e64 v5, v5, 1.0                                  // 0000000104E0: D1010005 0001E505
	v_add_f32_e64 v6, v6, 1.0                                  // 0000000104E8: D1010006 0001E506
	v_add_f32_e64 v7, v7, 1.0                                  // 0000000104F0: D1010007 0001E507
	v_rcp_f32_e32 v4, v4                                       // 0000000104F8: 7E084504
	v_rcp_f32_e32 v5, v5                                       // 0000000104FC: 7E0A4505
	v_rcp_f32_e32 v6, v6                                       // 000000010500: 7E0C4506
	v_rcp_f32_e32 v7, v7                                       // 000000010504: 7E0E4507
	v_mul_f32_e32 v136, v136, v4                               // 000000010508: 0B100988
	v_mul_f32_e32 v137, v137, v5                               // 00000001050C: 0B120B89
	v_mul_f32_e32 v138, v138, v6                               // 000000010510: 0B140D8A
	v_mul_f32_e32 v139, v139, v7                               // 000000010514: 0B160F8B
	v_mul_f32_e32 v136, v136, v232                             // 000000010518: 0B11D188
	v_mul_f32_e32 v137, v137, v233                             // 00000001051C: 0B13D389
	v_mul_f32_e32 v138, v138, v234                             // 000000010520: 0B15D58A
	v_mul_f32_e32 v139, v139, v235                             // 000000010524: 0B17D78B
	v_mul_f32_e64 v4, -v140, s6                                // 000000010528: D1050004 20000D8C
	v_mul_f32_e64 v5, -v141, s6                                // 000000010530: D1050005 20000D8D
	v_mul_f32_e64 v6, -v142, s6                                // 000000010538: D1050006 20000D8E
	v_mul_f32_e64 v7, -v143, s6                                // 000000010540: D1050007 20000D8F
	v_exp_f32_e32 v4, v4                                       // 000000010548: 7E084104
	v_exp_f32_e32 v5, v5                                       // 00000001054C: 7E0A4105
	v_exp_f32_e32 v6, v6                                       // 000000010550: 7E0C4106
	v_exp_f32_e32 v7, v7                                       // 000000010554: 7E0E4107
	v_add_f32_e64 v4, v4, 1.0                                  // 000000010558: D1010004 0001E504
	v_add_f32_e64 v5, v5, 1.0                                  // 000000010560: D1010005 0001E505
	v_add_f32_e64 v6, v6, 1.0                                  // 000000010568: D1010006 0001E506
	v_add_f32_e64 v7, v7, 1.0                                  // 000000010570: D1010007 0001E507
	v_rcp_f32_e32 v4, v4                                       // 000000010578: 7E084504
	v_rcp_f32_e32 v5, v5                                       // 00000001057C: 7E0A4505
	v_rcp_f32_e32 v6, v6                                       // 000000010580: 7E0C4506
	v_rcp_f32_e32 v7, v7                                       // 000000010584: 7E0E4507
	v_mul_f32_e32 v140, v140, v4                               // 000000010588: 0B18098C
	v_mul_f32_e32 v141, v141, v5                               // 00000001058C: 0B1A0B8D
	v_mul_f32_e32 v142, v142, v6                               // 000000010590: 0B1C0D8E
	v_mul_f32_e32 v143, v143, v7                               // 000000010594: 0B1E0F8F
	v_mul_f32_e32 v140, v140, v236                             // 000000010598: 0B19D98C
	v_mul_f32_e32 v141, v141, v237                             // 00000001059C: 0B1BDB8D
	v_mul_f32_e32 v142, v142, v238                             // 0000000105A0: 0B1DDD8E
	v_mul_f32_e32 v143, v143, v239                             // 0000000105A4: 0B1FDF8F
	v_mul_f32_e64 v4, -v144, s6                                // 0000000105A8: D1050004 20000D90
	v_mul_f32_e64 v5, -v145, s6                                // 0000000105B0: D1050005 20000D91
	v_mul_f32_e64 v6, -v146, s6                                // 0000000105B8: D1050006 20000D92
	v_mul_f32_e64 v7, -v147, s6                                // 0000000105C0: D1050007 20000D93
	v_exp_f32_e32 v4, v4                                       // 0000000105C8: 7E084104
	v_exp_f32_e32 v5, v5                                       // 0000000105CC: 7E0A4105
	v_exp_f32_e32 v6, v6                                       // 0000000105D0: 7E0C4106
	v_exp_f32_e32 v7, v7                                       // 0000000105D4: 7E0E4107
	v_add_f32_e64 v4, v4, 1.0                                  // 0000000105D8: D1010004 0001E504
	v_add_f32_e64 v5, v5, 1.0                                  // 0000000105E0: D1010005 0001E505
	v_add_f32_e64 v6, v6, 1.0                                  // 0000000105E8: D1010006 0001E506
	v_add_f32_e64 v7, v7, 1.0                                  // 0000000105F0: D1010007 0001E507
	v_rcp_f32_e32 v4, v4                                       // 0000000105F8: 7E084504
	v_rcp_f32_e32 v5, v5                                       // 0000000105FC: 7E0A4505
	v_rcp_f32_e32 v6, v6                                       // 000000010600: 7E0C4506
	v_rcp_f32_e32 v7, v7                                       // 000000010604: 7E0E4507
	v_mul_f32_e32 v144, v144, v4                               // 000000010608: 0B200990
	v_mul_f32_e32 v145, v145, v5                               // 00000001060C: 0B220B91
	v_mul_f32_e32 v146, v146, v6                               // 000000010610: 0B240D92
	v_mul_f32_e32 v147, v147, v7                               // 000000010614: 0B260F93
	v_mul_f32_e32 v144, v144, v240                             // 000000010618: 0B21E190
	v_mul_f32_e32 v145, v145, v241                             // 00000001061C: 0B23E391
	v_mul_f32_e32 v146, v146, v242                             // 000000010620: 0B25E592
	v_mul_f32_e32 v147, v147, v243                             // 000000010624: 0B27E793
	v_mul_f32_e64 v4, -v148, s6                                // 000000010628: D1050004 20000D94
	v_mul_f32_e64 v5, -v149, s6                                // 000000010630: D1050005 20000D95
	v_mul_f32_e64 v6, -v150, s6                                // 000000010638: D1050006 20000D96
	v_mul_f32_e64 v7, -v151, s6                                // 000000010640: D1050007 20000D97
	v_exp_f32_e32 v4, v4                                       // 000000010648: 7E084104
	v_exp_f32_e32 v5, v5                                       // 00000001064C: 7E0A4105
	v_exp_f32_e32 v6, v6                                       // 000000010650: 7E0C4106
	v_exp_f32_e32 v7, v7                                       // 000000010654: 7E0E4107
	v_add_f32_e64 v4, v4, 1.0                                  // 000000010658: D1010004 0001E504
	v_add_f32_e64 v5, v5, 1.0                                  // 000000010660: D1010005 0001E505
	v_add_f32_e64 v6, v6, 1.0                                  // 000000010668: D1010006 0001E506
	v_add_f32_e64 v7, v7, 1.0                                  // 000000010670: D1010007 0001E507
	v_rcp_f32_e32 v4, v4                                       // 000000010678: 7E084504
	v_rcp_f32_e32 v5, v5                                       // 00000001067C: 7E0A4505
	v_rcp_f32_e32 v6, v6                                       // 000000010680: 7E0C4506
	v_rcp_f32_e32 v7, v7                                       // 000000010684: 7E0E4507
	v_mul_f32_e32 v148, v148, v4                               // 000000010688: 0B280994
	v_mul_f32_e32 v149, v149, v5                               // 00000001068C: 0B2A0B95
	v_mul_f32_e32 v150, v150, v6                               // 000000010690: 0B2C0D96
	v_mul_f32_e32 v151, v151, v7                               // 000000010694: 0B2E0F97
	v_mul_f32_e32 v148, v148, v244                             // 000000010698: 0B29E994
	v_mul_f32_e32 v149, v149, v245                             // 00000001069C: 0B2BEB95
	v_mul_f32_e32 v150, v150, v246                             // 0000000106A0: 0B2DED96
	v_mul_f32_e32 v151, v151, v247                             // 0000000106A4: 0B2FEF97
	v_mul_f32_e64 v4, -v152, s6                                // 0000000106A8: D1050004 20000D98
	v_mul_f32_e64 v5, -v153, s6                                // 0000000106B0: D1050005 20000D99
	v_mul_f32_e64 v6, -v154, s6                                // 0000000106B8: D1050006 20000D9A
	v_mul_f32_e64 v7, -v155, s6                                // 0000000106C0: D1050007 20000D9B
	v_exp_f32_e32 v4, v4                                       // 0000000106C8: 7E084104
	v_exp_f32_e32 v5, v5                                       // 0000000106CC: 7E0A4105
	v_exp_f32_e32 v6, v6                                       // 0000000106D0: 7E0C4106
	v_exp_f32_e32 v7, v7                                       // 0000000106D4: 7E0E4107
	v_add_f32_e64 v4, v4, 1.0                                  // 0000000106D8: D1010004 0001E504
	v_add_f32_e64 v5, v5, 1.0                                  // 0000000106E0: D1010005 0001E505
	v_add_f32_e64 v6, v6, 1.0                                  // 0000000106E8: D1010006 0001E506
	v_add_f32_e64 v7, v7, 1.0                                  // 0000000106F0: D1010007 0001E507
	v_rcp_f32_e32 v4, v4                                       // 0000000106F8: 7E084504
	v_rcp_f32_e32 v5, v5                                       // 0000000106FC: 7E0A4505
	v_rcp_f32_e32 v6, v6                                       // 000000010700: 7E0C4506
	v_rcp_f32_e32 v7, v7                                       // 000000010704: 7E0E4507
	v_mul_f32_e32 v152, v152, v4                               // 000000010708: 0B300998
	v_mul_f32_e32 v153, v153, v5                               // 00000001070C: 0B320B99
	v_mul_f32_e32 v154, v154, v6                               // 000000010710: 0B340D9A
	v_mul_f32_e32 v155, v155, v7                               // 000000010714: 0B360F9B
	v_mul_f32_e32 v152, v152, v248                             // 000000010718: 0B31F198
	v_mul_f32_e32 v153, v153, v249                             // 00000001071C: 0B33F399
	v_mul_f32_e32 v154, v154, v250                             // 000000010720: 0B35F59A
	v_mul_f32_e32 v155, v155, v251                             // 000000010724: 0B37F79B

0000000000010728 <label_374D>:
	v_cmp_u_f32_e64 s[46:47], v60, v60                         // 000000010728: D048002E 0002793C
	v_add3_u32 v16, v60, v19, 1                                // 000000010730: D1FF0010 0206273C
	v_cndmask_b32_e64 v4, v16, v18, s[46:47]                   // 000000010738: D1000004 00BA2510
	v_cmp_u_f32_e64 s[46:47], v61, v61                         // 000000010740: D048002E 00027B3D
	v_add3_u32 v16, v61, v19, 1                                // 000000010748: D1FF0010 0206273D
	v_cndmask_b32_e64 v5, v16, v18, s[46:47]                   // 000000010750: D1000005 00BA2510
	v_perm_b32 v60, v5, v4, s52                                // 000000010758: D1ED003C 00D20905
	v_cmp_u_f32_e64 s[46:47], v62, v62                         // 000000010760: D048002E 00027D3E
	v_add3_u32 v16, v62, v19, 1                                // 000000010768: D1FF0010 0206273E
	v_cndmask_b32_e64 v4, v16, v18, s[46:47]                   // 000000010770: D1000004 00BA2510
	v_cmp_u_f32_e64 s[46:47], v63, v63                         // 000000010778: D048002E 00027F3F
	v_add3_u32 v16, v63, v19, 1                                // 000000010780: D1FF0010 0206273F
	v_cndmask_b32_e64 v5, v16, v18, s[46:47]                   // 000000010788: D1000005 00BA2510
	v_perm_b32 v61, v5, v4, s52                                // 000000010790: D1ED003D 00D20905
	v_cmp_u_f32_e64 s[46:47], v64, v64                         // 000000010798: D048002E 00028140
	v_add3_u32 v16, v64, v19, 1                                // 0000000107A0: D1FF0010 02062740
	v_cndmask_b32_e64 v4, v16, v18, s[46:47]                   // 0000000107A8: D1000004 00BA2510
	v_cmp_u_f32_e64 s[46:47], v65, v65                         // 0000000107B0: D048002E 00028341
	v_add3_u32 v16, v65, v19, 1                                // 0000000107B8: D1FF0010 02062741
	v_cndmask_b32_e64 v5, v16, v18, s[46:47]                   // 0000000107C0: D1000005 00BA2510
	v_perm_b32 v62, v5, v4, s52                                // 0000000107C8: D1ED003E 00D20905
	v_cmp_u_f32_e64 s[46:47], v66, v66                         // 0000000107D0: D048002E 00028542
	v_add3_u32 v16, v66, v19, 1                                // 0000000107D8: D1FF0010 02062742
	v_cndmask_b32_e64 v4, v16, v18, s[46:47]                   // 0000000107E0: D1000004 00BA2510
	v_cmp_u_f32_e64 s[46:47], v67, v67                         // 0000000107E8: D048002E 00028743
	v_add3_u32 v16, v67, v19, 1                                // 0000000107F0: D1FF0010 02062743
	v_cndmask_b32_e64 v5, v16, v18, s[46:47]                   // 0000000107F8: D1000005 00BA2510
	v_perm_b32 v63, v5, v4, s52                                // 000000010800: D1ED003F 00D20905
	v_cmp_u_f32_e64 s[46:47], v68, v68                         // 000000010808: D048002E 00028944
	v_add3_u32 v16, v68, v19, 1                                // 000000010810: D1FF0010 02062744
	v_cndmask_b32_e64 v4, v16, v18, s[46:47]                   // 000000010818: D1000004 00BA2510
	v_cmp_u_f32_e64 s[46:47], v69, v69                         // 000000010820: D048002E 00028B45
	v_add3_u32 v16, v69, v19, 1                                // 000000010828: D1FF0010 02062745
	v_cndmask_b32_e64 v5, v16, v18, s[46:47]                   // 000000010830: D1000005 00BA2510
	v_perm_b32 v64, v5, v4, s52                                // 000000010838: D1ED0040 00D20905
	v_cmp_u_f32_e64 s[46:47], v70, v70                         // 000000010840: D048002E 00028D46
	v_add3_u32 v16, v70, v19, 1                                // 000000010848: D1FF0010 02062746
	v_cndmask_b32_e64 v4, v16, v18, s[46:47]                   // 000000010850: D1000004 00BA2510
	v_cmp_u_f32_e64 s[46:47], v71, v71                         // 000000010858: D048002E 00028F47
	v_add3_u32 v16, v71, v19, 1                                // 000000010860: D1FF0010 02062747
	v_cndmask_b32_e64 v5, v16, v18, s[46:47]                   // 000000010868: D1000005 00BA2510
	v_perm_b32 v65, v5, v4, s52                                // 000000010870: D1ED0041 00D20905
	v_cmp_u_f32_e64 s[46:47], v72, v72                         // 000000010878: D048002E 00029148
	v_add3_u32 v16, v72, v19, 1                                // 000000010880: D1FF0010 02062748
	v_cndmask_b32_e64 v4, v16, v18, s[46:47]                   // 000000010888: D1000004 00BA2510
	v_cmp_u_f32_e64 s[46:47], v73, v73                         // 000000010890: D048002E 00029349
	v_add3_u32 v16, v73, v19, 1                                // 000000010898: D1FF0010 02062749
	v_cndmask_b32_e64 v5, v16, v18, s[46:47]                   // 0000000108A0: D1000005 00BA2510
	v_perm_b32 v66, v5, v4, s52                                // 0000000108A8: D1ED0042 00D20905
	v_cmp_u_f32_e64 s[46:47], v74, v74                         // 0000000108B0: D048002E 0002954A
	v_add3_u32 v16, v74, v19, 1                                // 0000000108B8: D1FF0010 0206274A
	v_cndmask_b32_e64 v4, v16, v18, s[46:47]                   // 0000000108C0: D1000004 00BA2510
	v_cmp_u_f32_e64 s[46:47], v75, v75                         // 0000000108C8: D048002E 0002974B
	v_add3_u32 v16, v75, v19, 1                                // 0000000108D0: D1FF0010 0206274B
	v_cndmask_b32_e64 v5, v16, v18, s[46:47]                   // 0000000108D8: D1000005 00BA2510
	v_perm_b32 v67, v5, v4, s52                                // 0000000108E0: D1ED0043 00D20905
	v_cmp_u_f32_e64 s[46:47], v76, v76                         // 0000000108E8: D048002E 0002994C
	v_add3_u32 v16, v76, v19, 1                                // 0000000108F0: D1FF0010 0206274C
	v_cndmask_b32_e64 v4, v16, v18, s[46:47]                   // 0000000108F8: D1000004 00BA2510
	v_cmp_u_f32_e64 s[46:47], v77, v77                         // 000000010900: D048002E 00029B4D
	v_add3_u32 v16, v77, v19, 1                                // 000000010908: D1FF0010 0206274D
	v_cndmask_b32_e64 v5, v16, v18, s[46:47]                   // 000000010910: D1000005 00BA2510
	v_perm_b32 v68, v5, v4, s52                                // 000000010918: D1ED0044 00D20905
	v_cmp_u_f32_e64 s[46:47], v78, v78                         // 000000010920: D048002E 00029D4E
	v_add3_u32 v16, v78, v19, 1                                // 000000010928: D1FF0010 0206274E
	v_cndmask_b32_e64 v4, v16, v18, s[46:47]                   // 000000010930: D1000004 00BA2510
	v_cmp_u_f32_e64 s[46:47], v79, v79                         // 000000010938: D048002E 00029F4F
	v_add3_u32 v16, v79, v19, 1                                // 000000010940: D1FF0010 0206274F
	v_cndmask_b32_e64 v5, v16, v18, s[46:47]                   // 000000010948: D1000005 00BA2510
	v_perm_b32 v69, v5, v4, s52                                // 000000010950: D1ED0045 00D20905
	v_cmp_u_f32_e64 s[46:47], v80, v80                         // 000000010958: D048002E 0002A150
	v_add3_u32 v16, v80, v19, 1                                // 000000010960: D1FF0010 02062750
	v_cndmask_b32_e64 v4, v16, v18, s[46:47]                   // 000000010968: D1000004 00BA2510
	v_cmp_u_f32_e64 s[46:47], v81, v81                         // 000000010970: D048002E 0002A351
	v_add3_u32 v16, v81, v19, 1                                // 000000010978: D1FF0010 02062751
	v_cndmask_b32_e64 v5, v16, v18, s[46:47]                   // 000000010980: D1000005 00BA2510
	v_perm_b32 v70, v5, v4, s52                                // 000000010988: D1ED0046 00D20905
	v_cmp_u_f32_e64 s[46:47], v82, v82                         // 000000010990: D048002E 0002A552
	v_add3_u32 v16, v82, v19, 1                                // 000000010998: D1FF0010 02062752
	v_cndmask_b32_e64 v4, v16, v18, s[46:47]                   // 0000000109A0: D1000004 00BA2510
	v_cmp_u_f32_e64 s[46:47], v83, v83                         // 0000000109A8: D048002E 0002A753
	v_add3_u32 v16, v83, v19, 1                                // 0000000109B0: D1FF0010 02062753
	v_cndmask_b32_e64 v5, v16, v18, s[46:47]                   // 0000000109B8: D1000005 00BA2510
	v_perm_b32 v71, v5, v4, s52                                // 0000000109C0: D1ED0047 00D20905
	v_cmp_u_f32_e64 s[46:47], v84, v84                         // 0000000109C8: D048002E 0002A954
	v_add3_u32 v16, v84, v19, 1                                // 0000000109D0: D1FF0010 02062754
	v_cndmask_b32_e64 v4, v16, v18, s[46:47]                   // 0000000109D8: D1000004 00BA2510
	v_cmp_u_f32_e64 s[46:47], v85, v85                         // 0000000109E0: D048002E 0002AB55
	v_add3_u32 v16, v85, v19, 1                                // 0000000109E8: D1FF0010 02062755
	v_cndmask_b32_e64 v5, v16, v18, s[46:47]                   // 0000000109F0: D1000005 00BA2510
	v_perm_b32 v72, v5, v4, s52                                // 0000000109F8: D1ED0048 00D20905
	v_cmp_u_f32_e64 s[46:47], v86, v86                         // 000000010A00: D048002E 0002AD56
	v_add3_u32 v16, v86, v19, 1                                // 000000010A08: D1FF0010 02062756
	v_cndmask_b32_e64 v4, v16, v18, s[46:47]                   // 000000010A10: D1000004 00BA2510
	v_cmp_u_f32_e64 s[46:47], v87, v87                         // 000000010A18: D048002E 0002AF57
	v_add3_u32 v16, v87, v19, 1                                // 000000010A20: D1FF0010 02062757
	v_cndmask_b32_e64 v5, v16, v18, s[46:47]                   // 000000010A28: D1000005 00BA2510
	v_perm_b32 v73, v5, v4, s52                                // 000000010A30: D1ED0049 00D20905
	v_cmp_u_f32_e64 s[46:47], v88, v88                         // 000000010A38: D048002E 0002B158
	v_add3_u32 v16, v88, v19, 1                                // 000000010A40: D1FF0010 02062758
	v_cndmask_b32_e64 v4, v16, v18, s[46:47]                   // 000000010A48: D1000004 00BA2510
	v_cmp_u_f32_e64 s[46:47], v89, v89                         // 000000010A50: D048002E 0002B359
	v_add3_u32 v16, v89, v19, 1                                // 000000010A58: D1FF0010 02062759
	v_cndmask_b32_e64 v5, v16, v18, s[46:47]                   // 000000010A60: D1000005 00BA2510
	v_perm_b32 v74, v5, v4, s52                                // 000000010A68: D1ED004A 00D20905
	v_cmp_u_f32_e64 s[46:47], v90, v90                         // 000000010A70: D048002E 0002B55A
	v_add3_u32 v16, v90, v19, 1                                // 000000010A78: D1FF0010 0206275A
	v_cndmask_b32_e64 v4, v16, v18, s[46:47]                   // 000000010A80: D1000004 00BA2510
	v_cmp_u_f32_e64 s[46:47], v91, v91                         // 000000010A88: D048002E 0002B75B
	v_add3_u32 v16, v91, v19, 1                                // 000000010A90: D1FF0010 0206275B
	v_cndmask_b32_e64 v5, v16, v18, s[46:47]                   // 000000010A98: D1000005 00BA2510
	v_perm_b32 v75, v5, v4, s52                                // 000000010AA0: D1ED004B 00D20905
	v_cmp_u_f32_e64 s[46:47], v92, v92                         // 000000010AA8: D048002E 0002B95C
	v_add3_u32 v16, v92, v19, 1                                // 000000010AB0: D1FF0010 0206275C
	v_cndmask_b32_e64 v4, v16, v18, s[46:47]                   // 000000010AB8: D1000004 00BA2510
	v_cmp_u_f32_e64 s[46:47], v93, v93                         // 000000010AC0: D048002E 0002BB5D
	v_add3_u32 v16, v93, v19, 1                                // 000000010AC8: D1FF0010 0206275D
	v_cndmask_b32_e64 v5, v16, v18, s[46:47]                   // 000000010AD0: D1000005 00BA2510
	v_perm_b32 v76, v5, v4, s52                                // 000000010AD8: D1ED004C 00D20905
	v_cmp_u_f32_e64 s[46:47], v94, v94                         // 000000010AE0: D048002E 0002BD5E
	v_add3_u32 v16, v94, v19, 1                                // 000000010AE8: D1FF0010 0206275E
	v_cndmask_b32_e64 v4, v16, v18, s[46:47]                   // 000000010AF0: D1000004 00BA2510
	v_cmp_u_f32_e64 s[46:47], v95, v95                         // 000000010AF8: D048002E 0002BF5F
	v_add3_u32 v16, v95, v19, 1                                // 000000010B00: D1FF0010 0206275F
	v_cndmask_b32_e64 v5, v16, v18, s[46:47]                   // 000000010B08: D1000005 00BA2510
	v_perm_b32 v77, v5, v4, s52                                // 000000010B10: D1ED004D 00D20905
	v_cmp_u_f32_e64 s[46:47], v96, v96                         // 000000010B18: D048002E 0002C160
	v_add3_u32 v16, v96, v19, 1                                // 000000010B20: D1FF0010 02062760
	v_cndmask_b32_e64 v4, v16, v18, s[46:47]                   // 000000010B28: D1000004 00BA2510
	v_cmp_u_f32_e64 s[46:47], v97, v97                         // 000000010B30: D048002E 0002C361
	v_add3_u32 v16, v97, v19, 1                                // 000000010B38: D1FF0010 02062761
	v_cndmask_b32_e64 v5, v16, v18, s[46:47]                   // 000000010B40: D1000005 00BA2510
	v_perm_b32 v78, v5, v4, s52                                // 000000010B48: D1ED004E 00D20905
	v_cmp_u_f32_e64 s[46:47], v98, v98                         // 000000010B50: D048002E 0002C562
	v_add3_u32 v16, v98, v19, 1                                // 000000010B58: D1FF0010 02062762
	v_cndmask_b32_e64 v4, v16, v18, s[46:47]                   // 000000010B60: D1000004 00BA2510
	v_cmp_u_f32_e64 s[46:47], v99, v99                         // 000000010B68: D048002E 0002C763
	v_add3_u32 v16, v99, v19, 1                                // 000000010B70: D1FF0010 02062763
	v_cndmask_b32_e64 v5, v16, v18, s[46:47]                   // 000000010B78: D1000005 00BA2510
	v_perm_b32 v79, v5, v4, s52                                // 000000010B80: D1ED004F 00D20905
	v_cmp_u_f32_e64 s[46:47], v100, v100                       // 000000010B88: D048002E 0002C964
	v_add3_u32 v16, v100, v19, 1                               // 000000010B90: D1FF0010 02062764
	v_cndmask_b32_e64 v4, v16, v18, s[46:47]                   // 000000010B98: D1000004 00BA2510
	v_cmp_u_f32_e64 s[46:47], v101, v101                       // 000000010BA0: D048002E 0002CB65
	v_add3_u32 v16, v101, v19, 1                               // 000000010BA8: D1FF0010 02062765
	v_cndmask_b32_e64 v5, v16, v18, s[46:47]                   // 000000010BB0: D1000005 00BA2510
	v_perm_b32 v80, v5, v4, s52                                // 000000010BB8: D1ED0050 00D20905
	v_cmp_u_f32_e64 s[46:47], v102, v102                       // 000000010BC0: D048002E 0002CD66
	v_add3_u32 v16, v102, v19, 1                               // 000000010BC8: D1FF0010 02062766
	v_cndmask_b32_e64 v4, v16, v18, s[46:47]                   // 000000010BD0: D1000004 00BA2510
	v_cmp_u_f32_e64 s[46:47], v103, v103                       // 000000010BD8: D048002E 0002CF67
	v_add3_u32 v16, v103, v19, 1                               // 000000010BE0: D1FF0010 02062767
	v_cndmask_b32_e64 v5, v16, v18, s[46:47]                   // 000000010BE8: D1000005 00BA2510
	v_perm_b32 v81, v5, v4, s52                                // 000000010BF0: D1ED0051 00D20905
	v_cmp_u_f32_e64 s[46:47], v104, v104                       // 000000010BF8: D048002E 0002D168
	v_add3_u32 v16, v104, v19, 1                               // 000000010C00: D1FF0010 02062768
	v_cndmask_b32_e64 v4, v16, v18, s[46:47]                   // 000000010C08: D1000004 00BA2510
	v_cmp_u_f32_e64 s[46:47], v105, v105                       // 000000010C10: D048002E 0002D369
	v_add3_u32 v16, v105, v19, 1                               // 000000010C18: D1FF0010 02062769
	v_cndmask_b32_e64 v5, v16, v18, s[46:47]                   // 000000010C20: D1000005 00BA2510
	v_perm_b32 v82, v5, v4, s52                                // 000000010C28: D1ED0052 00D20905
	v_cmp_u_f32_e64 s[46:47], v106, v106                       // 000000010C30: D048002E 0002D56A
	v_add3_u32 v16, v106, v19, 1                               // 000000010C38: D1FF0010 0206276A
	v_cndmask_b32_e64 v4, v16, v18, s[46:47]                   // 000000010C40: D1000004 00BA2510
	v_cmp_u_f32_e64 s[46:47], v107, v107                       // 000000010C48: D048002E 0002D76B
	v_add3_u32 v16, v107, v19, 1                               // 000000010C50: D1FF0010 0206276B
	v_cndmask_b32_e64 v5, v16, v18, s[46:47]                   // 000000010C58: D1000005 00BA2510
	v_perm_b32 v83, v5, v4, s52                                // 000000010C60: D1ED0053 00D20905
	v_cmp_u_f32_e64 s[46:47], v108, v108                       // 000000010C68: D048002E 0002D96C
	v_add3_u32 v16, v108, v19, 1                               // 000000010C70: D1FF0010 0206276C
	v_cndmask_b32_e64 v4, v16, v18, s[46:47]                   // 000000010C78: D1000004 00BA2510
	v_cmp_u_f32_e64 s[46:47], v109, v109                       // 000000010C80: D048002E 0002DB6D
	v_add3_u32 v16, v109, v19, 1                               // 000000010C88: D1FF0010 0206276D
	v_cndmask_b32_e64 v5, v16, v18, s[46:47]                   // 000000010C90: D1000005 00BA2510
	v_perm_b32 v84, v5, v4, s52                                // 000000010C98: D1ED0054 00D20905
	v_cmp_u_f32_e64 s[46:47], v110, v110                       // 000000010CA0: D048002E 0002DD6E
	v_add3_u32 v16, v110, v19, 1                               // 000000010CA8: D1FF0010 0206276E
	v_cndmask_b32_e64 v4, v16, v18, s[46:47]                   // 000000010CB0: D1000004 00BA2510
	v_cmp_u_f32_e64 s[46:47], v111, v111                       // 000000010CB8: D048002E 0002DF6F
	v_add3_u32 v16, v111, v19, 1                               // 000000010CC0: D1FF0010 0206276F
	v_cndmask_b32_e64 v5, v16, v18, s[46:47]                   // 000000010CC8: D1000005 00BA2510
	v_perm_b32 v85, v5, v4, s52                                // 000000010CD0: D1ED0055 00D20905
	v_cmp_u_f32_e64 s[46:47], v112, v112                       // 000000010CD8: D048002E 0002E170
	v_add3_u32 v16, v112, v19, 1                               // 000000010CE0: D1FF0010 02062770
	v_cndmask_b32_e64 v4, v16, v18, s[46:47]                   // 000000010CE8: D1000004 00BA2510
	v_cmp_u_f32_e64 s[46:47], v113, v113                       // 000000010CF0: D048002E 0002E371
	v_add3_u32 v16, v113, v19, 1                               // 000000010CF8: D1FF0010 02062771
	v_cndmask_b32_e64 v5, v16, v18, s[46:47]                   // 000000010D00: D1000005 00BA2510
	v_perm_b32 v86, v5, v4, s52                                // 000000010D08: D1ED0056 00D20905
	v_cmp_u_f32_e64 s[46:47], v114, v114                       // 000000010D10: D048002E 0002E572
	v_add3_u32 v16, v114, v19, 1                               // 000000010D18: D1FF0010 02062772
	v_cndmask_b32_e64 v4, v16, v18, s[46:47]                   // 000000010D20: D1000004 00BA2510
	v_cmp_u_f32_e64 s[46:47], v115, v115                       // 000000010D28: D048002E 0002E773
	v_add3_u32 v16, v115, v19, 1                               // 000000010D30: D1FF0010 02062773
	v_cndmask_b32_e64 v5, v16, v18, s[46:47]                   // 000000010D38: D1000005 00BA2510
	v_perm_b32 v87, v5, v4, s52                                // 000000010D40: D1ED0057 00D20905
	v_cmp_u_f32_e64 s[46:47], v116, v116                       // 000000010D48: D048002E 0002E974
	v_add3_u32 v16, v116, v19, 1                               // 000000010D50: D1FF0010 02062774
	v_cndmask_b32_e64 v4, v16, v18, s[46:47]                   // 000000010D58: D1000004 00BA2510
	v_cmp_u_f32_e64 s[46:47], v117, v117                       // 000000010D60: D048002E 0002EB75
	v_add3_u32 v16, v117, v19, 1                               // 000000010D68: D1FF0010 02062775
	v_cndmask_b32_e64 v5, v16, v18, s[46:47]                   // 000000010D70: D1000005 00BA2510
	v_perm_b32 v88, v5, v4, s52                                // 000000010D78: D1ED0058 00D20905
	v_cmp_u_f32_e64 s[46:47], v118, v118                       // 000000010D80: D048002E 0002ED76
	v_add3_u32 v16, v118, v19, 1                               // 000000010D88: D1FF0010 02062776
	v_cndmask_b32_e64 v4, v16, v18, s[46:47]                   // 000000010D90: D1000004 00BA2510
	v_cmp_u_f32_e64 s[46:47], v119, v119                       // 000000010D98: D048002E 0002EF77
	v_add3_u32 v16, v119, v19, 1                               // 000000010DA0: D1FF0010 02062777
	v_cndmask_b32_e64 v5, v16, v18, s[46:47]                   // 000000010DA8: D1000005 00BA2510
	v_perm_b32 v89, v5, v4, s52                                // 000000010DB0: D1ED0059 00D20905
	v_cmp_u_f32_e64 s[46:47], v120, v120                       // 000000010DB8: D048002E 0002F178
	v_add3_u32 v16, v120, v19, 1                               // 000000010DC0: D1FF0010 02062778
	v_cndmask_b32_e64 v4, v16, v18, s[46:47]                   // 000000010DC8: D1000004 00BA2510
	v_cmp_u_f32_e64 s[46:47], v121, v121                       // 000000010DD0: D048002E 0002F379
	v_add3_u32 v16, v121, v19, 1                               // 000000010DD8: D1FF0010 02062779
	v_cndmask_b32_e64 v5, v16, v18, s[46:47]                   // 000000010DE0: D1000005 00BA2510
	v_perm_b32 v90, v5, v4, s52                                // 000000010DE8: D1ED005A 00D20905
	v_cmp_u_f32_e64 s[46:47], v122, v122                       // 000000010DF0: D048002E 0002F57A
	v_add3_u32 v16, v122, v19, 1                               // 000000010DF8: D1FF0010 0206277A
	v_cndmask_b32_e64 v4, v16, v18, s[46:47]                   // 000000010E00: D1000004 00BA2510
	v_cmp_u_f32_e64 s[46:47], v123, v123                       // 000000010E08: D048002E 0002F77B
	v_add3_u32 v16, v123, v19, 1                               // 000000010E10: D1FF0010 0206277B
	v_cndmask_b32_e64 v5, v16, v18, s[46:47]                   // 000000010E18: D1000005 00BA2510
	v_perm_b32 v91, v5, v4, s52                                // 000000010E20: D1ED005B 00D20905
	v_cmp_u_f32_e64 s[46:47], v124, v124                       // 000000010E28: D048002E 0002F97C
	v_add3_u32 v16, v124, v19, 1                               // 000000010E30: D1FF0010 0206277C
	v_cndmask_b32_e64 v4, v16, v18, s[46:47]                   // 000000010E38: D1000004 00BA2510
	v_cmp_u_f32_e64 s[46:47], v125, v125                       // 000000010E40: D048002E 0002FB7D
	v_add3_u32 v16, v125, v19, 1                               // 000000010E48: D1FF0010 0206277D
	v_cndmask_b32_e64 v5, v16, v18, s[46:47]                   // 000000010E50: D1000005 00BA2510
	v_perm_b32 v92, v5, v4, s52                                // 000000010E58: D1ED005C 00D20905
	v_cmp_u_f32_e64 s[46:47], v126, v126                       // 000000010E60: D048002E 0002FD7E
	v_add3_u32 v16, v126, v19, 1                               // 000000010E68: D1FF0010 0206277E
	v_cndmask_b32_e64 v4, v16, v18, s[46:47]                   // 000000010E70: D1000004 00BA2510
	v_cmp_u_f32_e64 s[46:47], v127, v127                       // 000000010E78: D048002E 0002FF7F
	v_add3_u32 v16, v127, v19, 1                               // 000000010E80: D1FF0010 0206277F
	v_cndmask_b32_e64 v5, v16, v18, s[46:47]                   // 000000010E88: D1000005 00BA2510
	v_perm_b32 v93, v5, v4, s52                                // 000000010E90: D1ED005D 00D20905
	v_cmp_u_f32_e64 s[46:47], v128, v128                       // 000000010E98: D048002E 00030180
	v_add3_u32 v16, v128, v19, 1                               // 000000010EA0: D1FF0010 02062780
	v_cndmask_b32_e64 v4, v16, v18, s[46:47]                   // 000000010EA8: D1000004 00BA2510
	v_cmp_u_f32_e64 s[46:47], v129, v129                       // 000000010EB0: D048002E 00030381
	v_add3_u32 v16, v129, v19, 1                               // 000000010EB8: D1FF0010 02062781
	v_cndmask_b32_e64 v5, v16, v18, s[46:47]                   // 000000010EC0: D1000005 00BA2510
	v_perm_b32 v94, v5, v4, s52                                // 000000010EC8: D1ED005E 00D20905
	v_cmp_u_f32_e64 s[46:47], v130, v130                       // 000000010ED0: D048002E 00030582
	v_add3_u32 v16, v130, v19, 1                               // 000000010ED8: D1FF0010 02062782
	v_cndmask_b32_e64 v4, v16, v18, s[46:47]                   // 000000010EE0: D1000004 00BA2510
	v_cmp_u_f32_e64 s[46:47], v131, v131                       // 000000010EE8: D048002E 00030783
	v_add3_u32 v16, v131, v19, 1                               // 000000010EF0: D1FF0010 02062783
	v_cndmask_b32_e64 v5, v16, v18, s[46:47]                   // 000000010EF8: D1000005 00BA2510
	v_perm_b32 v95, v5, v4, s52                                // 000000010F00: D1ED005F 00D20905
	v_cmp_u_f32_e64 s[46:47], v132, v132                       // 000000010F08: D048002E 00030984
	v_add3_u32 v16, v132, v19, 1                               // 000000010F10: D1FF0010 02062784
	v_cndmask_b32_e64 v4, v16, v18, s[46:47]                   // 000000010F18: D1000004 00BA2510
	v_cmp_u_f32_e64 s[46:47], v133, v133                       // 000000010F20: D048002E 00030B85
	v_add3_u32 v16, v133, v19, 1                               // 000000010F28: D1FF0010 02062785
	v_cndmask_b32_e64 v5, v16, v18, s[46:47]                   // 000000010F30: D1000005 00BA2510
	v_perm_b32 v96, v5, v4, s52                                // 000000010F38: D1ED0060 00D20905
	v_cmp_u_f32_e64 s[46:47], v134, v134                       // 000000010F40: D048002E 00030D86
	v_add3_u32 v16, v134, v19, 1                               // 000000010F48: D1FF0010 02062786
	v_cndmask_b32_e64 v4, v16, v18, s[46:47]                   // 000000010F50: D1000004 00BA2510
	v_cmp_u_f32_e64 s[46:47], v135, v135                       // 000000010F58: D048002E 00030F87
	v_add3_u32 v16, v135, v19, 1                               // 000000010F60: D1FF0010 02062787
	v_cndmask_b32_e64 v5, v16, v18, s[46:47]                   // 000000010F68: D1000005 00BA2510
	v_perm_b32 v97, v5, v4, s52                                // 000000010F70: D1ED0061 00D20905
	v_cmp_u_f32_e64 s[46:47], v136, v136                       // 000000010F78: D048002E 00031188
	v_add3_u32 v16, v136, v19, 1                               // 000000010F80: D1FF0010 02062788
	v_cndmask_b32_e64 v4, v16, v18, s[46:47]                   // 000000010F88: D1000004 00BA2510
	v_cmp_u_f32_e64 s[46:47], v137, v137                       // 000000010F90: D048002E 00031389
	v_add3_u32 v16, v137, v19, 1                               // 000000010F98: D1FF0010 02062789
	v_cndmask_b32_e64 v5, v16, v18, s[46:47]                   // 000000010FA0: D1000005 00BA2510
	v_perm_b32 v98, v5, v4, s52                                // 000000010FA8: D1ED0062 00D20905
	v_cmp_u_f32_e64 s[46:47], v138, v138                       // 000000010FB0: D048002E 0003158A
	v_add3_u32 v16, v138, v19, 1                               // 000000010FB8: D1FF0010 0206278A
	v_cndmask_b32_e64 v4, v16, v18, s[46:47]                   // 000000010FC0: D1000004 00BA2510
	v_cmp_u_f32_e64 s[46:47], v139, v139                       // 000000010FC8: D048002E 0003178B
	v_add3_u32 v16, v139, v19, 1                               // 000000010FD0: D1FF0010 0206278B
	v_cndmask_b32_e64 v5, v16, v18, s[46:47]                   // 000000010FD8: D1000005 00BA2510
	v_perm_b32 v99, v5, v4, s52                                // 000000010FE0: D1ED0063 00D20905
	v_cmp_u_f32_e64 s[46:47], v140, v140                       // 000000010FE8: D048002E 0003198C
	v_add3_u32 v16, v140, v19, 1                               // 000000010FF0: D1FF0010 0206278C
	v_cndmask_b32_e64 v4, v16, v18, s[46:47]                   // 000000010FF8: D1000004 00BA2510
	v_cmp_u_f32_e64 s[46:47], v141, v141                       // 000000011000: D048002E 00031B8D
	v_add3_u32 v16, v141, v19, 1                               // 000000011008: D1FF0010 0206278D
	v_cndmask_b32_e64 v5, v16, v18, s[46:47]                   // 000000011010: D1000005 00BA2510
	v_perm_b32 v100, v5, v4, s52                               // 000000011018: D1ED0064 00D20905
	v_cmp_u_f32_e64 s[46:47], v142, v142                       // 000000011020: D048002E 00031D8E
	v_add3_u32 v16, v142, v19, 1                               // 000000011028: D1FF0010 0206278E
	v_cndmask_b32_e64 v4, v16, v18, s[46:47]                   // 000000011030: D1000004 00BA2510
	v_cmp_u_f32_e64 s[46:47], v143, v143                       // 000000011038: D048002E 00031F8F
	v_add3_u32 v16, v143, v19, 1                               // 000000011040: D1FF0010 0206278F
	v_cndmask_b32_e64 v5, v16, v18, s[46:47]                   // 000000011048: D1000005 00BA2510
	v_perm_b32 v101, v5, v4, s52                               // 000000011050: D1ED0065 00D20905
	v_cmp_u_f32_e64 s[46:47], v144, v144                       // 000000011058: D048002E 00032190
	v_add3_u32 v16, v144, v19, 1                               // 000000011060: D1FF0010 02062790
	v_cndmask_b32_e64 v4, v16, v18, s[46:47]                   // 000000011068: D1000004 00BA2510
	v_cmp_u_f32_e64 s[46:47], v145, v145                       // 000000011070: D048002E 00032391
	v_add3_u32 v16, v145, v19, 1                               // 000000011078: D1FF0010 02062791
	v_cndmask_b32_e64 v5, v16, v18, s[46:47]                   // 000000011080: D1000005 00BA2510
	v_perm_b32 v102, v5, v4, s52                               // 000000011088: D1ED0066 00D20905
	v_cmp_u_f32_e64 s[46:47], v146, v146                       // 000000011090: D048002E 00032592
	v_add3_u32 v16, v146, v19, 1                               // 000000011098: D1FF0010 02062792
	v_cndmask_b32_e64 v4, v16, v18, s[46:47]                   // 0000000110A0: D1000004 00BA2510
	v_cmp_u_f32_e64 s[46:47], v147, v147                       // 0000000110A8: D048002E 00032793
	v_add3_u32 v16, v147, v19, 1                               // 0000000110B0: D1FF0010 02062793
	v_cndmask_b32_e64 v5, v16, v18, s[46:47]                   // 0000000110B8: D1000005 00BA2510
	v_perm_b32 v103, v5, v4, s52                               // 0000000110C0: D1ED0067 00D20905
	v_cmp_u_f32_e64 s[46:47], v148, v148                       // 0000000110C8: D048002E 00032994
	v_add3_u32 v16, v148, v19, 1                               // 0000000110D0: D1FF0010 02062794
	v_cndmask_b32_e64 v4, v16, v18, s[46:47]                   // 0000000110D8: D1000004 00BA2510
	v_cmp_u_f32_e64 s[46:47], v149, v149                       // 0000000110E0: D048002E 00032B95
	v_add3_u32 v16, v149, v19, 1                               // 0000000110E8: D1FF0010 02062795
	v_cndmask_b32_e64 v5, v16, v18, s[46:47]                   // 0000000110F0: D1000005 00BA2510
	v_perm_b32 v104, v5, v4, s52                               // 0000000110F8: D1ED0068 00D20905
	v_cmp_u_f32_e64 s[46:47], v150, v150                       // 000000011100: D048002E 00032D96
	v_add3_u32 v16, v150, v19, 1                               // 000000011108: D1FF0010 02062796
	v_cndmask_b32_e64 v4, v16, v18, s[46:47]                   // 000000011110: D1000004 00BA2510
	v_cmp_u_f32_e64 s[46:47], v151, v151                       // 000000011118: D048002E 00032F97
	v_add3_u32 v16, v151, v19, 1                               // 000000011120: D1FF0010 02062797
	v_cndmask_b32_e64 v5, v16, v18, s[46:47]                   // 000000011128: D1000005 00BA2510
	v_perm_b32 v105, v5, v4, s52                               // 000000011130: D1ED0069 00D20905
	v_cmp_u_f32_e64 s[46:47], v152, v152                       // 000000011138: D048002E 00033198
	v_add3_u32 v16, v152, v19, 1                               // 000000011140: D1FF0010 02062798
	v_cndmask_b32_e64 v4, v16, v18, s[46:47]                   // 000000011148: D1000004 00BA2510
	v_cmp_u_f32_e64 s[46:47], v153, v153                       // 000000011150: D048002E 00033399
	v_add3_u32 v16, v153, v19, 1                               // 000000011158: D1FF0010 02062799
	v_cndmask_b32_e64 v5, v16, v18, s[46:47]                   // 000000011160: D1000005 00BA2510
	v_perm_b32 v106, v5, v4, s52                               // 000000011168: D1ED006A 00D20905
	v_cmp_u_f32_e64 s[46:47], v154, v154                       // 000000011170: D048002E 0003359A
	v_add3_u32 v16, v154, v19, 1                               // 000000011178: D1FF0010 0206279A
	v_cndmask_b32_e64 v4, v16, v18, s[46:47]                   // 000000011180: D1000004 00BA2510
	v_cmp_u_f32_e64 s[46:47], v155, v155                       // 000000011188: D048002E 0003379B
	v_add3_u32 v16, v155, v19, 1                               // 000000011190: D1FF0010 0206279B
	v_cndmask_b32_e64 v5, v16, v18, s[46:47]                   // 000000011198: D1000005 00BA2510
	v_perm_b32 v107, v5, v4, s52                               // 0000000111A0: D1ED006B 00D20905
	ds_write_b64 v20, v[60:61]                                 // 0000000111A8: D89A0000 00003C14
	ds_write_b64 v20, v[62:63] offset:17408                    // 0000000111B0: D89A4400 00003E14
	ds_write_b64 v20, v[64:65] offset:34816                    // 0000000111B8: D89A8800 00004014
	ds_write_b64 v20, v[66:67] offset:2176                     // 0000000111C0: D89A0880 00004214
	ds_write_b64 v20, v[68:69] offset:19584                    // 0000000111C8: D89A4C80 00004414
	ds_write_b64 v20, v[70:71] offset:36992                    // 0000000111D0: D89A9080 00004614
	ds_write_b64 v20, v[72:73] offset:4352                     // 0000000111D8: D89A1100 00004814
	ds_write_b64 v20, v[74:75] offset:21760                    // 0000000111E0: D89A5500 00004A14
	ds_write_b64 v20, v[76:77] offset:39168                    // 0000000111E8: D89A9900 00004C14
	ds_write_b64 v20, v[78:79] offset:6528                     // 0000000111F0: D89A1980 00004E14
	ds_write_b64 v20, v[80:81] offset:23936                    // 0000000111F8: D89A5D80 00005014
	ds_write_b64 v20, v[82:83] offset:41344                    // 000000011200: D89AA180 00005214
	ds_write_b64 v20, v[84:85] offset:8704                     // 000000011208: D89A2200 00005414
	ds_write_b64 v20, v[86:87] offset:26112                    // 000000011210: D89A6600 00005614
	ds_write_b64 v20, v[88:89] offset:43520                    // 000000011218: D89AAA00 00005814
	ds_write_b64 v20, v[90:91] offset:10880                    // 000000011220: D89A2A80 00005A14
	ds_write_b64 v20, v[92:93] offset:28288                    // 000000011228: D89A6E80 00005C14
	ds_write_b64 v20, v[94:95] offset:45696                    // 000000011230: D89AB280 00005E14
	ds_write_b64 v20, v[96:97] offset:13056                    // 000000011238: D89A3300 00006014
	ds_write_b64 v20, v[98:99] offset:30464                    // 000000011240: D89A7700 00006214
	ds_write_b64 v20, v[100:101] offset:47872                  // 000000011248: D89ABB00 00006414
	ds_write_b64 v20, v[102:103] offset:15232                  // 000000011250: D89A3B80 00006614
	ds_write_b64 v20, v[104:105] offset:32640                  // 000000011258: D89A7F80 00006814
	ds_write_b64 v20, v[106:107] offset:50048                  // 000000011260: D89AC380 00006A14
	v_lshrrev_b32_e32 v4, 5, v0                                // 000000011268: 20080085
	v_xor_b32_e32 v5, 1, v4                                    // 00000001126C: 2A0A0881
	s_mul_i32 s60, s65, 2                                      // 000000011270: 923C8241
	s_cmp_eq_u32 s88, 0                                        // 000000011274: BF068058
	s_cselect_b32 s61, 1, 4                                    // 000000011278: 853D8481
	s_mul_i32 s60, s61, s60                                    // 00000001127C: 923C3C3D
	v_readlane_b32 s82, v3, 0                                  // 000000011280: D2890052 00010103
	s_lshr_b32 s61, s82, 24                                    // 000000011288: 8F3D9852
	s_and_b32 s82, s82, 0xffffff                               // 00000001128C: 8652FF52 00FFFFFF
	s_mul_i32 s82, s82, s71                                    // 000000011294: 92524752
	s_mul_i32 s61, s60, s61                                    // 000000011298: 923D3D3C
	s_add_u32 s82, s82, s61                                    // 00000001129C: 80523D52
	v_mul_lo_u32 v6, v5, s82                                   // 0000000112A0: D2850006 0000A505
	v_readlane_b32 s82, v3, 1                                  // 0000000112A8: D2890052 00010303
	s_lshr_b32 s61, s82, 24                                    // 0000000112B0: 8F3D9852
	s_and_b32 s82, s82, 0xffffff                               // 0000000112B4: 8652FF52 00FFFFFF
	s_mul_i32 s82, s82, s71                                    // 0000000112BC: 92524752
	s_mul_i32 s61, s60, s61                                    // 0000000112C0: 923D3D3C
	s_add_u32 s82, s82, s61                                    // 0000000112C4: 80523D52
	v_mul_lo_u32 v7, v4, s82                                   // 0000000112C8: D2850007 0000A504
	v_add_u32_e32 v43, v6, v7                                  // 0000000112D0: 68560F06
	v_readlane_b32 s82, v3, 2                                  // 0000000112D4: D2890052 00010503
	s_lshr_b32 s61, s82, 24                                    // 0000000112DC: 8F3D9852
	s_and_b32 s82, s82, 0xffffff                               // 0000000112E0: 8652FF52 00FFFFFF
	s_mul_i32 s82, s82, s71                                    // 0000000112E8: 92524752
	s_mul_i32 s61, s60, s61                                    // 0000000112EC: 923D3D3C
	s_add_u32 s82, s82, s61                                    // 0000000112F0: 80523D52
	v_mul_lo_u32 v6, v5, s82                                   // 0000000112F4: D2850006 0000A505
	v_readlane_b32 s82, v3, 3                                  // 0000000112FC: D2890052 00010703
	s_lshr_b32 s61, s82, 24                                    // 000000011304: 8F3D9852
	s_and_b32 s82, s82, 0xffffff                               // 000000011308: 8652FF52 00FFFFFF
	s_mul_i32 s82, s82, s71                                    // 000000011310: 92524752
	s_mul_i32 s61, s60, s61                                    // 000000011314: 923D3D3C
	s_add_u32 s82, s82, s61                                    // 000000011318: 80523D52
	v_mul_lo_u32 v7, v4, s82                                   // 00000001131C: D2850007 0000A504
	v_add_u32_e32 v44, v6, v7                                  // 000000011324: 68580F06
	v_readlane_b32 s82, v3, 4                                  // 000000011328: D2890052 00010903
	s_lshr_b32 s61, s82, 24                                    // 000000011330: 8F3D9852
	s_and_b32 s82, s82, 0xffffff                               // 000000011334: 8652FF52 00FFFFFF
	s_mul_i32 s82, s82, s71                                    // 00000001133C: 92524752
	s_mul_i32 s61, s60, s61                                    // 000000011340: 923D3D3C
	s_add_u32 s82, s82, s61                                    // 000000011344: 80523D52
	v_mul_lo_u32 v6, v5, s82                                   // 000000011348: D2850006 0000A505
	v_readlane_b32 s82, v3, 5                                  // 000000011350: D2890052 00010B03
	s_lshr_b32 s61, s82, 24                                    // 000000011358: 8F3D9852
	s_and_b32 s82, s82, 0xffffff                               // 00000001135C: 8652FF52 00FFFFFF
	s_mul_i32 s82, s82, s71                                    // 000000011364: 92524752
	s_mul_i32 s61, s60, s61                                    // 000000011368: 923D3D3C
	s_add_u32 s82, s82, s61                                    // 00000001136C: 80523D52
	v_mul_lo_u32 v7, v4, s82                                   // 000000011370: D2850007 0000A504
	v_add_u32_e32 v45, v6, v7                                  // 000000011378: 685A0F06
	v_readlane_b32 s82, v3, 6                                  // 00000001137C: D2890052 00010D03
	s_lshr_b32 s61, s82, 24                                    // 000000011384: 8F3D9852
	s_and_b32 s82, s82, 0xffffff                               // 000000011388: 8652FF52 00FFFFFF
	s_mul_i32 s82, s82, s71                                    // 000000011390: 92524752
	s_mul_i32 s61, s60, s61                                    // 000000011394: 923D3D3C
	s_add_u32 s82, s82, s61                                    // 000000011398: 80523D52
	v_mul_lo_u32 v6, v5, s82                                   // 00000001139C: D2850006 0000A505
	v_readlane_b32 s82, v3, 7                                  // 0000000113A4: D2890052 00010F03
	s_lshr_b32 s61, s82, 24                                    // 0000000113AC: 8F3D9852
	s_and_b32 s82, s82, 0xffffff                               // 0000000113B0: 8652FF52 00FFFFFF
	s_mul_i32 s82, s82, s71                                    // 0000000113B8: 92524752
	s_mul_i32 s61, s60, s61                                    // 0000000113BC: 923D3D3C
	s_add_u32 s82, s82, s61                                    // 0000000113C0: 80523D52
	v_mul_lo_u32 v7, v4, s82                                   // 0000000113C4: D2850007 0000A504
	v_add_u32_e32 v46, v6, v7                                  // 0000000113CC: 685C0F06
	v_readlane_b32 s82, v3, 8                                  // 0000000113D0: D2890052 00011103
	s_lshr_b32 s61, s82, 24                                    // 0000000113D8: 8F3D9852
	s_and_b32 s82, s82, 0xffffff                               // 0000000113DC: 8652FF52 00FFFFFF
	s_mul_i32 s82, s82, s71                                    // 0000000113E4: 92524752
	s_mul_i32 s61, s60, s61                                    // 0000000113E8: 923D3D3C
	s_add_u32 s82, s82, s61                                    // 0000000113EC: 80523D52
	v_mul_lo_u32 v6, v5, s82                                   // 0000000113F0: D2850006 0000A505
	v_readlane_b32 s82, v3, 9                                  // 0000000113F8: D2890052 00011303
	s_lshr_b32 s61, s82, 24                                    // 000000011400: 8F3D9852
	s_and_b32 s82, s82, 0xffffff                               // 000000011404: 8652FF52 00FFFFFF
	s_mul_i32 s82, s82, s71                                    // 00000001140C: 92524752
	s_mul_i32 s61, s60, s61                                    // 000000011410: 923D3D3C
	s_add_u32 s82, s82, s61                                    // 000000011414: 80523D52
	v_mul_lo_u32 v7, v4, s82                                   // 000000011418: D2850007 0000A504
	v_add_u32_e32 v47, v6, v7                                  // 000000011420: 685E0F06
	v_readlane_b32 s82, v3, 10                                 // 000000011424: D2890052 00011503
	s_lshr_b32 s61, s82, 24                                    // 00000001142C: 8F3D9852
	s_and_b32 s82, s82, 0xffffff                               // 000000011430: 8652FF52 00FFFFFF
	s_mul_i32 s82, s82, s71                                    // 000000011438: 92524752
	s_mul_i32 s61, s60, s61                                    // 00000001143C: 923D3D3C
	s_add_u32 s82, s82, s61                                    // 000000011440: 80523D52
	v_mul_lo_u32 v6, v5, s82                                   // 000000011444: D2850006 0000A505
	v_readlane_b32 s82, v3, 11                                 // 00000001144C: D2890052 00011703
	s_lshr_b32 s61, s82, 24                                    // 000000011454: 8F3D9852
	s_and_b32 s82, s82, 0xffffff                               // 000000011458: 8652FF52 00FFFFFF
	s_mul_i32 s82, s82, s71                                    // 000000011460: 92524752
	s_mul_i32 s61, s60, s61                                    // 000000011464: 923D3D3C
	s_add_u32 s82, s82, s61                                    // 000000011468: 80523D52
	v_mul_lo_u32 v7, v4, s82                                   // 00000001146C: D2850007 0000A504
	v_add_u32_e32 v48, v6, v7                                  // 000000011474: 68600F06
	v_and_b32_e32 v4, 31, v0                                   // 000000011478: 2608009F
	v_lshrrev_b32_e32 v4, 1, v4                                // 00000001147C: 20080881
	s_cmp_eq_u32 s88, 0                                        // 000000011480: BF068058
	s_cselect_b32 s61, 2, 4                                    // 000000011484: 853D8482
	v_mul_lo_u32 v4, v4, s61                                   // 000000011488: D2850004 00007B04
	v_and_b32_e64 v5, v0, 1                                    // 000000011490: D1130005 00010300
	v_add_u32_e32 v4, v4, v5                                   // 000000011498: 68080B04
	v_lshlrev_b32_e32 v4, 2, v4                                // 00000001149C: 24080882
	v_add_u32_e32 v43, v43, v4                                 // 0000000114A0: 6856092B
	v_add_u32_e32 v44, v44, v4                                 // 0000000114A4: 6858092C
	v_add_u32_e32 v45, v45, v4                                 // 0000000114A8: 685A092D
	v_add_u32_e32 v46, v46, v4                                 // 0000000114AC: 685C092E
	v_add_u32_e32 v47, v47, v4                                 // 0000000114B0: 685E092F
	v_add_u32_e32 v48, v48, v4                                 // 0000000114B4: 68600930
	s_waitcnt lgkmcnt(0)                                       // 0000000114B8: BF8CC07F
	s_barrier                                                  // 0000000114BC: BF8A0000
	ds_read_b32 v60, v21                                       // 0000000114C0: D86C0000 3C000015
	ds_read_b32 v61, v21 offset:64                             // 0000000114C8: D86C0040 3D000015
	ds_read_b32 v62, v21 offset:2176                           // 0000000114D0: D86C0880 3E000015
	ds_read_b32 v63, v21 offset:2240                           // 0000000114D8: D86C08C0 3F000015
	ds_read_b32 v64, v21 offset:4352                           // 0000000114E0: D86C1100 40000015
	ds_read_b32 v65, v21 offset:4416                           // 0000000114E8: D86C1140 41000015
	ds_read_b32 v66, v21 offset:6528                           // 0000000114F0: D86C1980 42000015
	ds_read_b32 v67, v21 offset:6592                           // 0000000114F8: D86C19C0 43000015
	ds_read_b32 v68, v21 offset:8704                           // 000000011500: D86C2200 44000015
	ds_read_b32 v69, v21 offset:8768                           // 000000011508: D86C2240 45000015
	ds_read_b32 v70, v21 offset:10880                          // 000000011510: D86C2A80 46000015
	ds_read_b32 v71, v21 offset:10944                          // 000000011518: D86C2AC0 47000015
	ds_read_b32 v72, v21 offset:13056                          // 000000011520: D86C3300 48000015
	ds_read_b32 v73, v21 offset:13120                          // 000000011528: D86C3340 49000015
	ds_read_b32 v74, v21 offset:15232                          // 000000011530: D86C3B80 4A000015
	ds_read_b32 v75, v21 offset:15296                          // 000000011538: D86C3BC0 4B000015
	ds_read_b32 v76, v21 offset:17408                          // 000000011540: D86C4400 4C000015
	ds_read_b32 v77, v21 offset:17472                          // 000000011548: D86C4440 4D000015
	ds_read_b32 v78, v21 offset:19584                          // 000000011550: D86C4C80 4E000015
	ds_read_b32 v79, v21 offset:19648                          // 000000011558: D86C4CC0 4F000015
	ds_read_b32 v80, v21 offset:21760                          // 000000011560: D86C5500 50000015
	ds_read_b32 v81, v21 offset:21824                          // 000000011568: D86C5540 51000015
	ds_read_b32 v82, v21 offset:23936                          // 000000011570: D86C5D80 52000015
	ds_read_b32 v83, v21 offset:24000                          // 000000011578: D86C5DC0 53000015
	ds_read_b32 v84, v21 offset:26112                          // 000000011580: D86C6600 54000015
	ds_read_b32 v85, v21 offset:26176                          // 000000011588: D86C6640 55000015
	ds_read_b32 v86, v21 offset:28288                          // 000000011590: D86C6E80 56000015
	ds_read_b32 v87, v21 offset:28352                          // 000000011598: D86C6EC0 57000015
	ds_read_b32 v88, v21 offset:30464                          // 0000000115A0: D86C7700 58000015
	ds_read_b32 v89, v21 offset:30528                          // 0000000115A8: D86C7740 59000015
	ds_read_b32 v90, v21 offset:32640                          // 0000000115B0: D86C7F80 5A000015
	ds_read_b32 v91, v21 offset:32704                          // 0000000115B8: D86C7FC0 5B000015
	ds_read_b32 v92, v21 offset:34816                          // 0000000115C0: D86C8800 5C000015
	ds_read_b32 v93, v21 offset:34880                          // 0000000115C8: D86C8840 5D000015
	ds_read_b32 v94, v21 offset:36992                          // 0000000115D0: D86C9080 5E000015
	ds_read_b32 v95, v21 offset:37056                          // 0000000115D8: D86C90C0 5F000015
	ds_read_b32 v96, v21 offset:39168                          // 0000000115E0: D86C9900 60000015
	ds_read_b32 v97, v21 offset:39232                          // 0000000115E8: D86C9940 61000015
	ds_read_b32 v98, v21 offset:41344                          // 0000000115F0: D86CA180 62000015
	ds_read_b32 v99, v21 offset:41408                          // 0000000115F8: D86CA1C0 63000015
	ds_read_b32 v100, v21 offset:43520                         // 000000011600: D86CAA00 64000015
	ds_read_b32 v101, v21 offset:43584                         // 000000011608: D86CAA40 65000015
	ds_read_b32 v102, v21 offset:45696                         // 000000011610: D86CB280 66000015
	ds_read_b32 v103, v21 offset:45760                         // 000000011618: D86CB2C0 67000015
	ds_read_b32 v104, v21 offset:47872                         // 000000011620: D86CBB00 68000015
	ds_read_b32 v105, v21 offset:47936                         // 000000011628: D86CBB40 69000015
	ds_read_b32 v106, v21 offset:50048                         // 000000011630: D86CC380 6A000015
	ds_read_b32 v107, v21 offset:50112                         // 000000011638: D86CC3C0 6B000015
	s_waitcnt lgkmcnt(0)                                       // 000000011640: BF8CC07F
	s_mov_b32 s36, -1                                          // 000000011644: BEA400C1
	s_mov_b32 s37, -1                                          // 000000011648: BEA500C1
	v_mov_b32_e32 v7, 0                                        // 00000001164C: 7E0E0280
	s_or_b32 s9, s9, 0x40000                                   // 000000011650: 8709FF09 00040000
	s_mov_b64 exec, s[36:37]                                   // 000000011658: BEFE0124
	v_mov_b32_e32 v6, v43                                      // 00000001165C: 7E0C032B
	s_mov_b64 s[60:61], 0                                      // 000000011660: BEBC0180
	v_readlane_b32 s82, v3, 0                                  // 000000011664: D2890052 00010103
	s_and_b32 s82, s82, 0xffffff                               // 00000001166C: 8652FF52 00FFFFFF
	s_cmp_lt_u32 s82, s66                                      // 000000011674: BF0A4252
	s_cselect_b32 s20, s36, s60                                // 000000011678: 85143C24
	v_readlane_b32 s82, v3, 1                                  // 00000001167C: D2890052 00010303
	s_and_b32 s82, s82, 0xffffff                               // 000000011684: 8652FF52 00FFFFFF
	s_cmp_lt_u32 s82, s66                                      // 00000001168C: BF0A4252
	s_cselect_b32 s21, s36, s60                                // 000000011690: 85153C24
	s_mov_b64 exec, s[20:21]                                   // 000000011694: BEFE0114
	buffer_store_dword v60, v6, s[8:11], 0 offen               // 000000011698: E0701000 80023C06
	buffer_store_dword v62, v6, s[8:11], 0 offen offset:128    // 0000000116A0: E0701080 80023E06
	buffer_store_dword v64, v6, s[8:11], 0 offen offset:256    // 0000000116A8: E0701100 80024006
	buffer_store_dword v66, v6, s[8:11], 0 offen offset:384    // 0000000116B0: E0701180 80024206
	buffer_store_dword v68, v6, s[8:11], 0 offen offset:512    // 0000000116B8: E0701200 80024406
	buffer_store_dword v70, v6, s[8:11], 0 offen offset:640    // 0000000116C0: E0701280 80024606
	buffer_store_dword v72, v6, s[8:11], 0 offen offset:768    // 0000000116C8: E0701300 80024806
	buffer_store_dword v74, v6, s[8:11], 0 offen offset:896    // 0000000116D0: E0701380 80024A06
	s_mov_b64 exec, s[36:37]                                   // 0000000116D8: BEFE0124
	v_mov_b32_e32 v6, v44                                      // 0000000116DC: 7E0C032C
	s_mov_b64 s[60:61], 0                                      // 0000000116E0: BEBC0180
	v_readlane_b32 s82, v3, 2                                  // 0000000116E4: D2890052 00010503
	s_and_b32 s82, s82, 0xffffff                               // 0000000116EC: 8652FF52 00FFFFFF
	s_cmp_lt_u32 s82, s66                                      // 0000000116F4: BF0A4252
	s_cselect_b32 s20, s36, s60                                // 0000000116F8: 85143C24
	v_readlane_b32 s82, v3, 3                                  // 0000000116FC: D2890052 00010703
	s_and_b32 s82, s82, 0xffffff                               // 000000011704: 8652FF52 00FFFFFF
	s_cmp_lt_u32 s82, s66                                      // 00000001170C: BF0A4252
	s_cselect_b32 s21, s36, s60                                // 000000011710: 85153C24
	s_mov_b64 exec, s[20:21]                                   // 000000011714: BEFE0114
	buffer_store_dword v61, v6, s[8:11], 0 offen               // 000000011718: E0701000 80023D06
	buffer_store_dword v63, v6, s[8:11], 0 offen offset:128    // 000000011720: E0701080 80023F06
	buffer_store_dword v65, v6, s[8:11], 0 offen offset:256    // 000000011728: E0701100 80024106
	buffer_store_dword v67, v6, s[8:11], 0 offen offset:384    // 000000011730: E0701180 80024306
	buffer_store_dword v69, v6, s[8:11], 0 offen offset:512    // 000000011738: E0701200 80024506
	buffer_store_dword v71, v6, s[8:11], 0 offen offset:640    // 000000011740: E0701280 80024706
	buffer_store_dword v73, v6, s[8:11], 0 offen offset:768    // 000000011748: E0701300 80024906
	buffer_store_dword v75, v6, s[8:11], 0 offen offset:896    // 000000011750: E0701380 80024B06
	s_mov_b64 exec, s[36:37]                                   // 000000011758: BEFE0124
	v_mov_b32_e32 v6, v45                                      // 00000001175C: 7E0C032D
	s_mov_b64 s[60:61], 0                                      // 000000011760: BEBC0180
	v_readlane_b32 s82, v3, 4                                  // 000000011764: D2890052 00010903
	s_and_b32 s82, s82, 0xffffff                               // 00000001176C: 8652FF52 00FFFFFF
	s_cmp_lt_u32 s82, s66                                      // 000000011774: BF0A4252
	s_cselect_b32 s20, s36, s60                                // 000000011778: 85143C24
	v_readlane_b32 s82, v3, 5                                  // 00000001177C: D2890052 00010B03
	s_and_b32 s82, s82, 0xffffff                               // 000000011784: 8652FF52 00FFFFFF
	s_cmp_lt_u32 s82, s66                                      // 00000001178C: BF0A4252
	s_cselect_b32 s21, s36, s60                                // 000000011790: 85153C24
	s_mov_b64 exec, s[20:21]                                   // 000000011794: BEFE0114
	buffer_store_dword v76, v6, s[8:11], 0 offen               // 000000011798: E0701000 80024C06
	buffer_store_dword v78, v6, s[8:11], 0 offen offset:128    // 0000000117A0: E0701080 80024E06
	buffer_store_dword v80, v6, s[8:11], 0 offen offset:256    // 0000000117A8: E0701100 80025006
	buffer_store_dword v82, v6, s[8:11], 0 offen offset:384    // 0000000117B0: E0701180 80025206
	buffer_store_dword v84, v6, s[8:11], 0 offen offset:512    // 0000000117B8: E0701200 80025406
	buffer_store_dword v86, v6, s[8:11], 0 offen offset:640    // 0000000117C0: E0701280 80025606
	buffer_store_dword v88, v6, s[8:11], 0 offen offset:768    // 0000000117C8: E0701300 80025806
	buffer_store_dword v90, v6, s[8:11], 0 offen offset:896    // 0000000117D0: E0701380 80025A06
	s_mov_b64 exec, s[36:37]                                   // 0000000117D8: BEFE0124
	v_mov_b32_e32 v6, v46                                      // 0000000117DC: 7E0C032E
	s_mov_b64 s[60:61], 0                                      // 0000000117E0: BEBC0180
	v_readlane_b32 s82, v3, 6                                  // 0000000117E4: D2890052 00010D03
	s_and_b32 s82, s82, 0xffffff                               // 0000000117EC: 8652FF52 00FFFFFF
	s_cmp_lt_u32 s82, s66                                      // 0000000117F4: BF0A4252
	s_cselect_b32 s20, s36, s60                                // 0000000117F8: 85143C24
	v_readlane_b32 s82, v3, 7                                  // 0000000117FC: D2890052 00010F03
	s_and_b32 s82, s82, 0xffffff                               // 000000011804: 8652FF52 00FFFFFF
	s_cmp_lt_u32 s82, s66                                      // 00000001180C: BF0A4252
	s_cselect_b32 s21, s36, s60                                // 000000011810: 85153C24
	s_mov_b64 exec, s[20:21]                                   // 000000011814: BEFE0114
	buffer_store_dword v77, v6, s[8:11], 0 offen               // 000000011818: E0701000 80024D06
	buffer_store_dword v79, v6, s[8:11], 0 offen offset:128    // 000000011820: E0701080 80024F06
	buffer_store_dword v81, v6, s[8:11], 0 offen offset:256    // 000000011828: E0701100 80025106
	buffer_store_dword v83, v6, s[8:11], 0 offen offset:384    // 000000011830: E0701180 80025306
	buffer_store_dword v85, v6, s[8:11], 0 offen offset:512    // 000000011838: E0701200 80025506
	buffer_store_dword v87, v6, s[8:11], 0 offen offset:640    // 000000011840: E0701280 80025706
	buffer_store_dword v89, v6, s[8:11], 0 offen offset:768    // 000000011848: E0701300 80025906
	buffer_store_dword v91, v6, s[8:11], 0 offen offset:896    // 000000011850: E0701380 80025B06
	s_mov_b64 exec, s[36:37]                                   // 000000011858: BEFE0124
	v_mov_b32_e32 v6, v47                                      // 00000001185C: 7E0C032F
	s_mov_b64 s[60:61], 0                                      // 000000011860: BEBC0180
	v_readlane_b32 s82, v3, 8                                  // 000000011864: D2890052 00011103
	s_and_b32 s82, s82, 0xffffff                               // 00000001186C: 8652FF52 00FFFFFF
	s_cmp_lt_u32 s82, s66                                      // 000000011874: BF0A4252
	s_cselect_b32 s20, s36, s60                                // 000000011878: 85143C24
	v_readlane_b32 s82, v3, 9                                  // 00000001187C: D2890052 00011303
	s_and_b32 s82, s82, 0xffffff                               // 000000011884: 8652FF52 00FFFFFF
	s_cmp_lt_u32 s82, s66                                      // 00000001188C: BF0A4252
	s_cselect_b32 s21, s36, s60                                // 000000011890: 85153C24
	s_mov_b64 exec, s[20:21]                                   // 000000011894: BEFE0114
	buffer_store_dword v92, v6, s[8:11], 0 offen               // 000000011898: E0701000 80025C06
	buffer_store_dword v94, v6, s[8:11], 0 offen offset:128    // 0000000118A0: E0701080 80025E06
	buffer_store_dword v96, v6, s[8:11], 0 offen offset:256    // 0000000118A8: E0701100 80026006
	buffer_store_dword v98, v6, s[8:11], 0 offen offset:384    // 0000000118B0: E0701180 80026206
	buffer_store_dword v100, v6, s[8:11], 0 offen offset:512   // 0000000118B8: E0701200 80026406
	buffer_store_dword v102, v6, s[8:11], 0 offen offset:640   // 0000000118C0: E0701280 80026606
	buffer_store_dword v104, v6, s[8:11], 0 offen offset:768   // 0000000118C8: E0701300 80026806
	buffer_store_dword v106, v6, s[8:11], 0 offen offset:896   // 0000000118D0: E0701380 80026A06
	s_mov_b64 exec, s[36:37]                                   // 0000000118D8: BEFE0124
	v_mov_b32_e32 v6, v48                                      // 0000000118DC: 7E0C0330
	s_mov_b64 s[60:61], 0                                      // 0000000118E0: BEBC0180
	v_readlane_b32 s82, v3, 10                                 // 0000000118E4: D2890052 00011503
	s_and_b32 s82, s82, 0xffffff                               // 0000000118EC: 8652FF52 00FFFFFF
	s_cmp_lt_u32 s82, s66                                      // 0000000118F4: BF0A4252
	s_cselect_b32 s20, s36, s60                                // 0000000118F8: 85143C24
	v_readlane_b32 s82, v3, 11                                 // 0000000118FC: D2890052 00011703
	s_and_b32 s82, s82, 0xffffff                               // 000000011904: 8652FF52 00FFFFFF
	s_cmp_lt_u32 s82, s66                                      // 00000001190C: BF0A4252
	s_cselect_b32 s21, s36, s60                                // 000000011910: 85153C24
	s_mov_b64 exec, s[20:21]                                   // 000000011914: BEFE0114
	buffer_store_dword v93, v6, s[8:11], 0 offen               // 000000011918: E0701000 80025D06
	buffer_store_dword v95, v6, s[8:11], 0 offen offset:128    // 000000011920: E0701080 80025F06
	buffer_store_dword v97, v6, s[8:11], 0 offen offset:256    // 000000011928: E0701100 80026106
	buffer_store_dword v99, v6, s[8:11], 0 offen offset:384    // 000000011930: E0701180 80026306
	buffer_store_dword v101, v6, s[8:11], 0 offen offset:512   // 000000011938: E0701200 80026506
	buffer_store_dword v103, v6, s[8:11], 0 offen offset:640   // 000000011940: E0701280 80026706
	buffer_store_dword v105, v6, s[8:11], 0 offen offset:768   // 000000011948: E0701300 80026906
	buffer_store_dword v107, v6, s[8:11], 0 offen offset:896   // 000000011950: E0701380 80026B06
	s_mov_b64 exec, s[36:37]                                   // 000000011958: BEFE0124
	s_branch label_41C9                                        // 00000001195C: BF8205EE

0000000000011960 <label_3BDB>:
	ds_write_b64 v20, v[60:61]                                 // 000000011960: D89A0000 00003C14
	ds_write_b64 v20, v[64:65] offset:17408                    // 000000011968: D89A4400 00004014
	ds_write_b64 v20, v[68:69] offset:34816                    // 000000011970: D89A8800 00004414
	ds_write_b64 v20, v[72:73] offset:2176                     // 000000011978: D89A0880 00004814
	ds_write_b64 v20, v[76:77] offset:19584                    // 000000011980: D89A4C80 00004C14
	ds_write_b64 v20, v[80:81] offset:36992                    // 000000011988: D89A9080 00005014
	ds_write_b64 v20, v[84:85] offset:4352                     // 000000011990: D89A1100 00005414
	ds_write_b64 v20, v[88:89] offset:21760                    // 000000011998: D89A5500 00005814
	ds_write_b64 v20, v[92:93] offset:39168                    // 0000000119A0: D89A9900 00005C14
	ds_write_b64 v20, v[96:97] offset:6528                     // 0000000119A8: D89A1980 00006014
	ds_write_b64 v20, v[100:101] offset:23936                  // 0000000119B0: D89A5D80 00006414
	ds_write_b64 v20, v[104:105] offset:41344                  // 0000000119B8: D89AA180 00006814
	ds_write_b64 v20, v[108:109] offset:8704                   // 0000000119C0: D89A2200 00006C14
	ds_write_b64 v20, v[112:113] offset:26112                  // 0000000119C8: D89A6600 00007014
	ds_write_b64 v20, v[116:117] offset:43520                  // 0000000119D0: D89AAA00 00007414
	ds_write_b64 v20, v[120:121] offset:10880                  // 0000000119D8: D89A2A80 00007814
	ds_write_b64 v20, v[124:125] offset:28288                  // 0000000119E0: D89A6E80 00007C14
	ds_write_b64 v20, v[128:129] offset:45696                  // 0000000119E8: D89AB280 00008014
	ds_write_b64 v20, v[132:133] offset:13056                  // 0000000119F0: D89A3300 00008414
	ds_write_b64 v20, v[136:137] offset:30464                  // 0000000119F8: D89A7700 00008814
	ds_write_b64 v20, v[140:141] offset:47872                  // 000000011A00: D89ABB00 00008C14
	ds_write_b64 v20, v[144:145] offset:15232                  // 000000011A08: D89A3B80 00009014
	ds_write_b64 v20, v[148:149] offset:32640                  // 000000011A10: D89A7F80 00009414
	ds_write_b64 v20, v[152:153] offset:50048                  // 000000011A18: D89AC380 00009814
	v_lshrrev_b32_e32 v4, 5, v0                                // 000000011A20: 20080085
	v_xor_b32_e32 v5, 1, v4                                    // 000000011A24: 2A0A0881
	s_mul_i32 s60, s65, 2                                      // 000000011A28: 923C8241
	s_cmp_eq_u32 s88, 0                                        // 000000011A2C: BF068058
	s_cselect_b32 s61, 1, 4                                    // 000000011A30: 853D8481
	s_mul_i32 s60, s61, s60                                    // 000000011A34: 923C3C3D
	v_readlane_b32 s82, v3, 0                                  // 000000011A38: D2890052 00010103
	s_lshr_b32 s61, s82, 24                                    // 000000011A40: 8F3D9852
	s_and_b32 s82, s82, 0xffffff                               // 000000011A44: 8652FF52 00FFFFFF
	s_mul_i32 s82, s82, s71                                    // 000000011A4C: 92524752
	s_mul_i32 s61, s60, s61                                    // 000000011A50: 923D3D3C
	s_add_u32 s82, s82, s61                                    // 000000011A54: 80523D52
	v_mul_lo_u32 v6, v5, s82                                   // 000000011A58: D2850006 0000A505
	v_readlane_b32 s82, v3, 1                                  // 000000011A60: D2890052 00010303
	s_lshr_b32 s61, s82, 24                                    // 000000011A68: 8F3D9852
	s_and_b32 s82, s82, 0xffffff                               // 000000011A6C: 8652FF52 00FFFFFF
	s_mul_i32 s82, s82, s71                                    // 000000011A74: 92524752
	s_mul_i32 s61, s60, s61                                    // 000000011A78: 923D3D3C
	s_add_u32 s82, s82, s61                                    // 000000011A7C: 80523D52
	v_mul_lo_u32 v7, v4, s82                                   // 000000011A80: D2850007 0000A504
	v_add_u32_e32 v43, v6, v7                                  // 000000011A88: 68560F06
	v_readlane_b32 s82, v3, 2                                  // 000000011A8C: D2890052 00010503
	s_lshr_b32 s61, s82, 24                                    // 000000011A94: 8F3D9852
	s_and_b32 s82, s82, 0xffffff                               // 000000011A98: 8652FF52 00FFFFFF
	s_mul_i32 s82, s82, s71                                    // 000000011AA0: 92524752
	s_mul_i32 s61, s60, s61                                    // 000000011AA4: 923D3D3C
	s_add_u32 s82, s82, s61                                    // 000000011AA8: 80523D52
	v_mul_lo_u32 v6, v5, s82                                   // 000000011AAC: D2850006 0000A505
	v_readlane_b32 s82, v3, 3                                  // 000000011AB4: D2890052 00010703
	s_lshr_b32 s61, s82, 24                                    // 000000011ABC: 8F3D9852
	s_and_b32 s82, s82, 0xffffff                               // 000000011AC0: 8652FF52 00FFFFFF
	s_mul_i32 s82, s82, s71                                    // 000000011AC8: 92524752
	s_mul_i32 s61, s60, s61                                    // 000000011ACC: 923D3D3C
	s_add_u32 s82, s82, s61                                    // 000000011AD0: 80523D52
	v_mul_lo_u32 v7, v4, s82                                   // 000000011AD4: D2850007 0000A504
	v_add_u32_e32 v44, v6, v7                                  // 000000011ADC: 68580F06
	v_readlane_b32 s82, v3, 4                                  // 000000011AE0: D2890052 00010903
	s_lshr_b32 s61, s82, 24                                    // 000000011AE8: 8F3D9852
	s_and_b32 s82, s82, 0xffffff                               // 000000011AEC: 8652FF52 00FFFFFF
	s_mul_i32 s82, s82, s71                                    // 000000011AF4: 92524752
	s_mul_i32 s61, s60, s61                                    // 000000011AF8: 923D3D3C
	s_add_u32 s82, s82, s61                                    // 000000011AFC: 80523D52
	v_mul_lo_u32 v6, v5, s82                                   // 000000011B00: D2850006 0000A505
	v_readlane_b32 s82, v3, 5                                  // 000000011B08: D2890052 00010B03
	s_lshr_b32 s61, s82, 24                                    // 000000011B10: 8F3D9852
	s_and_b32 s82, s82, 0xffffff                               // 000000011B14: 8652FF52 00FFFFFF
	s_mul_i32 s82, s82, s71                                    // 000000011B1C: 92524752
	s_mul_i32 s61, s60, s61                                    // 000000011B20: 923D3D3C
	s_add_u32 s82, s82, s61                                    // 000000011B24: 80523D52
	v_mul_lo_u32 v7, v4, s82                                   // 000000011B28: D2850007 0000A504
	v_add_u32_e32 v45, v6, v7                                  // 000000011B30: 685A0F06
	v_readlane_b32 s82, v3, 6                                  // 000000011B34: D2890052 00010D03
	s_lshr_b32 s61, s82, 24                                    // 000000011B3C: 8F3D9852
	s_and_b32 s82, s82, 0xffffff                               // 000000011B40: 8652FF52 00FFFFFF
	s_mul_i32 s82, s82, s71                                    // 000000011B48: 92524752
	s_mul_i32 s61, s60, s61                                    // 000000011B4C: 923D3D3C
	s_add_u32 s82, s82, s61                                    // 000000011B50: 80523D52
	v_mul_lo_u32 v6, v5, s82                                   // 000000011B54: D2850006 0000A505
	v_readlane_b32 s82, v3, 7                                  // 000000011B5C: D2890052 00010F03
	s_lshr_b32 s61, s82, 24                                    // 000000011B64: 8F3D9852
	s_and_b32 s82, s82, 0xffffff                               // 000000011B68: 8652FF52 00FFFFFF
	s_mul_i32 s82, s82, s71                                    // 000000011B70: 92524752
	s_mul_i32 s61, s60, s61                                    // 000000011B74: 923D3D3C
	s_add_u32 s82, s82, s61                                    // 000000011B78: 80523D52
	v_mul_lo_u32 v7, v4, s82                                   // 000000011B7C: D2850007 0000A504
	v_add_u32_e32 v46, v6, v7                                  // 000000011B84: 685C0F06
	v_readlane_b32 s82, v3, 8                                  // 000000011B88: D2890052 00011103
	s_lshr_b32 s61, s82, 24                                    // 000000011B90: 8F3D9852
	s_and_b32 s82, s82, 0xffffff                               // 000000011B94: 8652FF52 00FFFFFF
	s_mul_i32 s82, s82, s71                                    // 000000011B9C: 92524752
	s_mul_i32 s61, s60, s61                                    // 000000011BA0: 923D3D3C
	s_add_u32 s82, s82, s61                                    // 000000011BA4: 80523D52
	v_mul_lo_u32 v6, v5, s82                                   // 000000011BA8: D2850006 0000A505
	v_readlane_b32 s82, v3, 9                                  // 000000011BB0: D2890052 00011303
	s_lshr_b32 s61, s82, 24                                    // 000000011BB8: 8F3D9852
	s_and_b32 s82, s82, 0xffffff                               // 000000011BBC: 8652FF52 00FFFFFF
	s_mul_i32 s82, s82, s71                                    // 000000011BC4: 92524752
	s_mul_i32 s61, s60, s61                                    // 000000011BC8: 923D3D3C
	s_add_u32 s82, s82, s61                                    // 000000011BCC: 80523D52
	v_mul_lo_u32 v7, v4, s82                                   // 000000011BD0: D2850007 0000A504
	v_add_u32_e32 v47, v6, v7                                  // 000000011BD8: 685E0F06
	v_readlane_b32 s82, v3, 10                                 // 000000011BDC: D2890052 00011503
	s_lshr_b32 s61, s82, 24                                    // 000000011BE4: 8F3D9852
	s_and_b32 s82, s82, 0xffffff                               // 000000011BE8: 8652FF52 00FFFFFF
	s_mul_i32 s82, s82, s71                                    // 000000011BF0: 92524752
	s_mul_i32 s61, s60, s61                                    // 000000011BF4: 923D3D3C
	s_add_u32 s82, s82, s61                                    // 000000011BF8: 80523D52
	v_mul_lo_u32 v6, v5, s82                                   // 000000011BFC: D2850006 0000A505
	v_readlane_b32 s82, v3, 11                                 // 000000011C04: D2890052 00011703
	s_lshr_b32 s61, s82, 24                                    // 000000011C0C: 8F3D9852
	s_and_b32 s82, s82, 0xffffff                               // 000000011C10: 8652FF52 00FFFFFF
	s_mul_i32 s82, s82, s71                                    // 000000011C18: 92524752
	s_mul_i32 s61, s60, s61                                    // 000000011C1C: 923D3D3C
	s_add_u32 s82, s82, s61                                    // 000000011C20: 80523D52
	v_mul_lo_u32 v7, v4, s82                                   // 000000011C24: D2850007 0000A504
	v_add_u32_e32 v48, v6, v7                                  // 000000011C2C: 68600F06
	v_and_b32_e32 v4, 31, v0                                   // 000000011C30: 2608009F
	v_lshrrev_b32_e32 v4, 1, v4                                // 000000011C34: 20080881
	s_cmp_eq_u32 s88, 0                                        // 000000011C38: BF068058
	s_cselect_b32 s61, 2, 4                                    // 000000011C3C: 853D8482
	v_mul_lo_u32 v4, v4, s61                                   // 000000011C40: D2850004 00007B04
	v_and_b32_e64 v5, v0, 1                                    // 000000011C48: D1130005 00010300
	v_add_u32_e32 v4, v4, v5                                   // 000000011C50: 68080B04
	v_lshlrev_b32_e32 v4, 2, v4                                // 000000011C54: 24080882
	v_add_u32_e32 v43, v43, v4                                 // 000000011C58: 6856092B
	v_add_u32_e32 v44, v44, v4                                 // 000000011C5C: 6858092C
	v_add_u32_e32 v45, v45, v4                                 // 000000011C60: 685A092D
	v_add_u32_e32 v46, v46, v4                                 // 000000011C64: 685C092E
	v_add_u32_e32 v47, v47, v4                                 // 000000011C68: 685E092F
	v_add_u32_e32 v48, v48, v4                                 // 000000011C6C: 68600930
	s_waitcnt lgkmcnt(0)                                       // 000000011C70: BF8CC07F
	s_barrier                                                  // 000000011C74: BF8A0000
	ds_read_b32 v60, v21                                       // 000000011C78: D86C0000 3C000015
	ds_read_b32 v61, v21 offset:64                             // 000000011C80: D86C0040 3D000015
	ds_read_b32 v64, v21 offset:2176                           // 000000011C88: D86C0880 40000015
	ds_read_b32 v65, v21 offset:2240                           // 000000011C90: D86C08C0 41000015
	ds_read_b32 v68, v21 offset:4352                           // 000000011C98: D86C1100 44000015
	ds_read_b32 v69, v21 offset:4416                           // 000000011CA0: D86C1140 45000015
	ds_read_b32 v72, v21 offset:6528                           // 000000011CA8: D86C1980 48000015
	ds_read_b32 v73, v21 offset:6592                           // 000000011CB0: D86C19C0 49000015
	ds_read_b32 v76, v21 offset:8704                           // 000000011CB8: D86C2200 4C000015
	ds_read_b32 v77, v21 offset:8768                           // 000000011CC0: D86C2240 4D000015
	ds_read_b32 v80, v21 offset:10880                          // 000000011CC8: D86C2A80 50000015
	ds_read_b32 v81, v21 offset:10944                          // 000000011CD0: D86C2AC0 51000015
	ds_read_b32 v84, v21 offset:13056                          // 000000011CD8: D86C3300 54000015
	ds_read_b32 v85, v21 offset:13120                          // 000000011CE0: D86C3340 55000015
	ds_read_b32 v88, v21 offset:15232                          // 000000011CE8: D86C3B80 58000015
	ds_read_b32 v89, v21 offset:15296                          // 000000011CF0: D86C3BC0 59000015
	ds_read_b32 v92, v21 offset:17408                          // 000000011CF8: D86C4400 5C000015
	ds_read_b32 v93, v21 offset:17472                          // 000000011D00: D86C4440 5D000015
	ds_read_b32 v96, v21 offset:19584                          // 000000011D08: D86C4C80 60000015
	ds_read_b32 v97, v21 offset:19648                          // 000000011D10: D86C4CC0 61000015
	ds_read_b32 v100, v21 offset:21760                         // 000000011D18: D86C5500 64000015
	ds_read_b32 v101, v21 offset:21824                         // 000000011D20: D86C5540 65000015
	ds_read_b32 v104, v21 offset:23936                         // 000000011D28: D86C5D80 68000015
	ds_read_b32 v105, v21 offset:24000                         // 000000011D30: D86C5DC0 69000015
	ds_read_b32 v108, v21 offset:26112                         // 000000011D38: D86C6600 6C000015
	ds_read_b32 v109, v21 offset:26176                         // 000000011D40: D86C6640 6D000015
	ds_read_b32 v112, v21 offset:28288                         // 000000011D48: D86C6E80 70000015
	ds_read_b32 v113, v21 offset:28352                         // 000000011D50: D86C6EC0 71000015
	ds_read_b32 v116, v21 offset:30464                         // 000000011D58: D86C7700 74000015
	ds_read_b32 v117, v21 offset:30528                         // 000000011D60: D86C7740 75000015
	ds_read_b32 v120, v21 offset:32640                         // 000000011D68: D86C7F80 78000015
	ds_read_b32 v121, v21 offset:32704                         // 000000011D70: D86C7FC0 79000015
	ds_read_b32 v124, v21 offset:34816                         // 000000011D78: D86C8800 7C000015
	ds_read_b32 v125, v21 offset:34880                         // 000000011D80: D86C8840 7D000015
	ds_read_b32 v128, v21 offset:36992                         // 000000011D88: D86C9080 80000015
	ds_read_b32 v129, v21 offset:37056                         // 000000011D90: D86C90C0 81000015
	ds_read_b32 v132, v21 offset:39168                         // 000000011D98: D86C9900 84000015
	ds_read_b32 v133, v21 offset:39232                         // 000000011DA0: D86C9940 85000015
	ds_read_b32 v136, v21 offset:41344                         // 000000011DA8: D86CA180 88000015
	ds_read_b32 v137, v21 offset:41408                         // 000000011DB0: D86CA1C0 89000015
	ds_read_b32 v140, v21 offset:43520                         // 000000011DB8: D86CAA00 8C000015
	ds_read_b32 v141, v21 offset:43584                         // 000000011DC0: D86CAA40 8D000015
	ds_read_b32 v144, v21 offset:45696                         // 000000011DC8: D86CB280 90000015
	ds_read_b32 v145, v21 offset:45760                         // 000000011DD0: D86CB2C0 91000015
	ds_read_b32 v148, v21 offset:47872                         // 000000011DD8: D86CBB00 94000015
	ds_read_b32 v149, v21 offset:47936                         // 000000011DE0: D86CBB40 95000015
	ds_read_b32 v152, v21 offset:50048                         // 000000011DE8: D86CC380 98000015
	ds_read_b32 v153, v21 offset:50112                         // 000000011DF0: D86CC3C0 99000015
	s_waitcnt lgkmcnt(0)                                       // 000000011DF8: BF8CC07F
	s_mov_b32 s36, -1                                          // 000000011DFC: BEA400C1
	s_mov_b32 s37, -1                                          // 000000011E00: BEA500C1
	v_mov_b32_e32 v7, 0                                        // 000000011E04: 7E0E0280
	s_mov_b64 exec, s[36:37]                                   // 000000011E08: BEFE0124
	v_mov_b32_e32 v6, v43                                      // 000000011E0C: 7E0C032B
	s_mov_b64 s[60:61], 0                                      // 000000011E10: BEBC0180
	v_readlane_b32 s82, v3, 0                                  // 000000011E14: D2890052 00010103
	s_and_b32 s82, s82, 0xffffff                               // 000000011E1C: 8652FF52 00FFFFFF
	s_cmp_lt_u32 s82, s66                                      // 000000011E24: BF0A4252
	s_cselect_b32 s20, s36, s60                                // 000000011E28: 85143C24
	v_readlane_b32 s82, v3, 1                                  // 000000011E2C: D2890052 00010303
	s_and_b32 s82, s82, 0xffffff                               // 000000011E34: 8652FF52 00FFFFFF
	s_cmp_lt_u32 s82, s66                                      // 000000011E3C: BF0A4252
	s_cselect_b32 s21, s36, s60                                // 000000011E40: 85153C24
	s_mov_b64 exec, s[20:21]                                   // 000000011E44: BEFE0114
	global_atomic_add_f32 v6, v60, s[8:9]                      // 000000011E48: DD348000 00083C06
	global_atomic_add_f32 v6, v64, s[8:9] offset:256           // 000000011E50: DD348100 00084006
	global_atomic_add_f32 v6, v68, s[8:9] offset:512           // 000000011E58: DD348200 00084406
	global_atomic_add_f32 v6, v72, s[8:9] offset:768           // 000000011E60: DD348300 00084806
	global_atomic_add_f32 v6, v76, s[8:9] offset:1024          // 000000011E68: DD348400 00084C06
	global_atomic_add_f32 v6, v80, s[8:9] offset:1280          // 000000011E70: DD348500 00085006
	global_atomic_add_f32 v6, v84, s[8:9] offset:1536          // 000000011E78: DD348600 00085406
	global_atomic_add_f32 v6, v88, s[8:9] offset:1792          // 000000011E80: DD348700 00085806
	s_mov_b64 exec, s[36:37]                                   // 000000011E88: BEFE0124
	v_mov_b32_e32 v6, v44                                      // 000000011E8C: 7E0C032C
	s_mov_b64 s[60:61], 0                                      // 000000011E90: BEBC0180
	v_readlane_b32 s82, v3, 2                                  // 000000011E94: D2890052 00010503
	s_and_b32 s82, s82, 0xffffff                               // 000000011E9C: 8652FF52 00FFFFFF
	s_cmp_lt_u32 s82, s66                                      // 000000011EA4: BF0A4252
	s_cselect_b32 s20, s36, s60                                // 000000011EA8: 85143C24
	v_readlane_b32 s82, v3, 3                                  // 000000011EAC: D2890052 00010703
	s_and_b32 s82, s82, 0xffffff                               // 000000011EB4: 8652FF52 00FFFFFF
	s_cmp_lt_u32 s82, s66                                      // 000000011EBC: BF0A4252
	s_cselect_b32 s21, s36, s60                                // 000000011EC0: 85153C24
	s_mov_b64 exec, s[20:21]                                   // 000000011EC4: BEFE0114
	global_atomic_add_f32 v6, v61, s[8:9]                      // 000000011EC8: DD348000 00083D06
	global_atomic_add_f32 v6, v65, s[8:9] offset:256           // 000000011ED0: DD348100 00084106
	global_atomic_add_f32 v6, v69, s[8:9] offset:512           // 000000011ED8: DD348200 00084506
	global_atomic_add_f32 v6, v73, s[8:9] offset:768           // 000000011EE0: DD348300 00084906
	global_atomic_add_f32 v6, v77, s[8:9] offset:1024          // 000000011EE8: DD348400 00084D06
	global_atomic_add_f32 v6, v81, s[8:9] offset:1280          // 000000011EF0: DD348500 00085106
	global_atomic_add_f32 v6, v85, s[8:9] offset:1536          // 000000011EF8: DD348600 00085506
	global_atomic_add_f32 v6, v89, s[8:9] offset:1792          // 000000011F00: DD348700 00085906
	s_mov_b64 exec, s[36:37]                                   // 000000011F08: BEFE0124
	v_mov_b32_e32 v6, v45                                      // 000000011F0C: 7E0C032D
	s_mov_b64 s[60:61], 0                                      // 000000011F10: BEBC0180
	v_readlane_b32 s82, v3, 4                                  // 000000011F14: D2890052 00010903
	s_and_b32 s82, s82, 0xffffff                               // 000000011F1C: 8652FF52 00FFFFFF
	s_cmp_lt_u32 s82, s66                                      // 000000011F24: BF0A4252
	s_cselect_b32 s20, s36, s60                                // 000000011F28: 85143C24
	v_readlane_b32 s82, v3, 5                                  // 000000011F2C: D2890052 00010B03
	s_and_b32 s82, s82, 0xffffff                               // 000000011F34: 8652FF52 00FFFFFF
	s_cmp_lt_u32 s82, s66                                      // 000000011F3C: BF0A4252
	s_cselect_b32 s21, s36, s60                                // 000000011F40: 85153C24
	s_mov_b64 exec, s[20:21]                                   // 000000011F44: BEFE0114
	global_atomic_add_f32 v6, v92, s[8:9]                      // 000000011F48: DD348000 00085C06
	global_atomic_add_f32 v6, v96, s[8:9] offset:256           // 000000011F50: DD348100 00086006
	global_atomic_add_f32 v6, v100, s[8:9] offset:512          // 000000011F58: DD348200 00086406
	global_atomic_add_f32 v6, v104, s[8:9] offset:768          // 000000011F60: DD348300 00086806
	global_atomic_add_f32 v6, v108, s[8:9] offset:1024         // 000000011F68: DD348400 00086C06
	global_atomic_add_f32 v6, v112, s[8:9] offset:1280         // 000000011F70: DD348500 00087006
	global_atomic_add_f32 v6, v116, s[8:9] offset:1536         // 000000011F78: DD348600 00087406
	global_atomic_add_f32 v6, v120, s[8:9] offset:1792         // 000000011F80: DD348700 00087806
	s_mov_b64 exec, s[36:37]                                   // 000000011F88: BEFE0124
	v_mov_b32_e32 v6, v46                                      // 000000011F8C: 7E0C032E
	s_mov_b64 s[60:61], 0                                      // 000000011F90: BEBC0180
	v_readlane_b32 s82, v3, 6                                  // 000000011F94: D2890052 00010D03
	s_and_b32 s82, s82, 0xffffff                               // 000000011F9C: 8652FF52 00FFFFFF
	s_cmp_lt_u32 s82, s66                                      // 000000011FA4: BF0A4252
	s_cselect_b32 s20, s36, s60                                // 000000011FA8: 85143C24
	v_readlane_b32 s82, v3, 7                                  // 000000011FAC: D2890052 00010F03
	s_and_b32 s82, s82, 0xffffff                               // 000000011FB4: 8652FF52 00FFFFFF
	s_cmp_lt_u32 s82, s66                                      // 000000011FBC: BF0A4252
	s_cselect_b32 s21, s36, s60                                // 000000011FC0: 85153C24
	s_mov_b64 exec, s[20:21]                                   // 000000011FC4: BEFE0114
	global_atomic_add_f32 v6, v93, s[8:9]                      // 000000011FC8: DD348000 00085D06
	global_atomic_add_f32 v6, v97, s[8:9] offset:256           // 000000011FD0: DD348100 00086106
	global_atomic_add_f32 v6, v101, s[8:9] offset:512          // 000000011FD8: DD348200 00086506
	global_atomic_add_f32 v6, v105, s[8:9] offset:768          // 000000011FE0: DD348300 00086906
	global_atomic_add_f32 v6, v109, s[8:9] offset:1024         // 000000011FE8: DD348400 00086D06
	global_atomic_add_f32 v6, v113, s[8:9] offset:1280         // 000000011FF0: DD348500 00087106
	global_atomic_add_f32 v6, v117, s[8:9] offset:1536         // 000000011FF8: DD348600 00087506
	global_atomic_add_f32 v6, v121, s[8:9] offset:1792         // 000000012000: DD348700 00087906
	s_mov_b64 exec, s[36:37]                                   // 000000012008: BEFE0124
	v_mov_b32_e32 v6, v47                                      // 00000001200C: 7E0C032F
	s_mov_b64 s[60:61], 0                                      // 000000012010: BEBC0180
	v_readlane_b32 s82, v3, 8                                  // 000000012014: D2890052 00011103
	s_and_b32 s82, s82, 0xffffff                               // 00000001201C: 8652FF52 00FFFFFF
	s_cmp_lt_u32 s82, s66                                      // 000000012024: BF0A4252
	s_cselect_b32 s20, s36, s60                                // 000000012028: 85143C24
	v_readlane_b32 s82, v3, 9                                  // 00000001202C: D2890052 00011303
	s_and_b32 s82, s82, 0xffffff                               // 000000012034: 8652FF52 00FFFFFF
	s_cmp_lt_u32 s82, s66                                      // 00000001203C: BF0A4252
	s_cselect_b32 s21, s36, s60                                // 000000012040: 85153C24
	s_mov_b64 exec, s[20:21]                                   // 000000012044: BEFE0114
	global_atomic_add_f32 v6, v124, s[8:9]                     // 000000012048: DD348000 00087C06
	global_atomic_add_f32 v6, v128, s[8:9] offset:256          // 000000012050: DD348100 00088006
	global_atomic_add_f32 v6, v132, s[8:9] offset:512          // 000000012058: DD348200 00088406
	global_atomic_add_f32 v6, v136, s[8:9] offset:768          // 000000012060: DD348300 00088806
	global_atomic_add_f32 v6, v140, s[8:9] offset:1024         // 000000012068: DD348400 00088C06
	global_atomic_add_f32 v6, v144, s[8:9] offset:1280         // 000000012070: DD348500 00089006
	global_atomic_add_f32 v6, v148, s[8:9] offset:1536         // 000000012078: DD348600 00089406
	global_atomic_add_f32 v6, v152, s[8:9] offset:1792         // 000000012080: DD348700 00089806
	s_mov_b64 exec, s[36:37]                                   // 000000012088: BEFE0124
	v_mov_b32_e32 v6, v48                                      // 00000001208C: 7E0C0330
	s_mov_b64 s[60:61], 0                                      // 000000012090: BEBC0180
	v_readlane_b32 s82, v3, 10                                 // 000000012094: D2890052 00011503
	s_and_b32 s82, s82, 0xffffff                               // 00000001209C: 8652FF52 00FFFFFF
	s_cmp_lt_u32 s82, s66                                      // 0000000120A4: BF0A4252
	s_cselect_b32 s20, s36, s60                                // 0000000120A8: 85143C24
	v_readlane_b32 s82, v3, 11                                 // 0000000120AC: D2890052 00011703
	s_and_b32 s82, s82, 0xffffff                               // 0000000120B4: 8652FF52 00FFFFFF
	s_cmp_lt_u32 s82, s66                                      // 0000000120BC: BF0A4252
	s_cselect_b32 s21, s36, s60                                // 0000000120C0: 85153C24
	s_mov_b64 exec, s[20:21]                                   // 0000000120C4: BEFE0114
	global_atomic_add_f32 v6, v125, s[8:9]                     // 0000000120C8: DD348000 00087D06
	global_atomic_add_f32 v6, v129, s[8:9] offset:256          // 0000000120D0: DD348100 00088106
	global_atomic_add_f32 v6, v133, s[8:9] offset:512          // 0000000120D8: DD348200 00088506
	global_atomic_add_f32 v6, v137, s[8:9] offset:768          // 0000000120E0: DD348300 00088906
	global_atomic_add_f32 v6, v141, s[8:9] offset:1024         // 0000000120E8: DD348400 00088D06
	global_atomic_add_f32 v6, v145, s[8:9] offset:1280         // 0000000120F0: DD348500 00089106
	global_atomic_add_f32 v6, v149, s[8:9] offset:1536         // 0000000120F8: DD348600 00089506
	global_atomic_add_f32 v6, v153, s[8:9] offset:1792         // 000000012100: DD348700 00089906
	s_mov_b64 exec, s[36:37]                                   // 000000012108: BEFE0124
	ds_write_b64 v20, v[62:63]                                 // 00000001210C: D89A0000 00003E14
	ds_write_b64 v20, v[66:67] offset:17408                    // 000000012114: D89A4400 00004214
	ds_write_b64 v20, v[70:71] offset:34816                    // 00000001211C: D89A8800 00004614
	ds_write_b64 v20, v[74:75] offset:2176                     // 000000012124: D89A0880 00004A14
	ds_write_b64 v20, v[78:79] offset:19584                    // 00000001212C: D89A4C80 00004E14
	ds_write_b64 v20, v[82:83] offset:36992                    // 000000012134: D89A9080 00005214
	ds_write_b64 v20, v[86:87] offset:4352                     // 00000001213C: D89A1100 00005614
	ds_write_b64 v20, v[90:91] offset:21760                    // 000000012144: D89A5500 00005A14
	ds_write_b64 v20, v[94:95] offset:39168                    // 00000001214C: D89A9900 00005E14
	ds_write_b64 v20, v[98:99] offset:6528                     // 000000012154: D89A1980 00006214
	ds_write_b64 v20, v[102:103] offset:23936                  // 00000001215C: D89A5D80 00006614
	ds_write_b64 v20, v[106:107] offset:41344                  // 000000012164: D89AA180 00006A14
	ds_write_b64 v20, v[110:111] offset:8704                   // 00000001216C: D89A2200 00006E14
	ds_write_b64 v20, v[114:115] offset:26112                  // 000000012174: D89A6600 00007214
	ds_write_b64 v20, v[118:119] offset:43520                  // 00000001217C: D89AAA00 00007614
	ds_write_b64 v20, v[122:123] offset:10880                  // 000000012184: D89A2A80 00007A14
	ds_write_b64 v20, v[126:127] offset:28288                  // 00000001218C: D89A6E80 00007E14
	ds_write_b64 v20, v[130:131] offset:45696                  // 000000012194: D89AB280 00008214
	ds_write_b64 v20, v[134:135] offset:13056                  // 00000001219C: D89A3300 00008614
	ds_write_b64 v20, v[138:139] offset:30464                  // 0000000121A4: D89A7700 00008A14
	ds_write_b64 v20, v[142:143] offset:47872                  // 0000000121AC: D89ABB00 00008E14
	ds_write_b64 v20, v[146:147] offset:15232                  // 0000000121B4: D89A3B80 00009214
	ds_write_b64 v20, v[150:151] offset:32640                  // 0000000121BC: D89A7F80 00009614
	ds_write_b64 v20, v[154:155] offset:50048                  // 0000000121C4: D89AC380 00009A14
	s_waitcnt lgkmcnt(0)                                       // 0000000121CC: BF8CC07F
	s_barrier                                                  // 0000000121D0: BF8A0000
	ds_read_b32 v62, v21                                       // 0000000121D4: D86C0000 3E000015
	ds_read_b32 v63, v21 offset:64                             // 0000000121DC: D86C0040 3F000015
	ds_read_b32 v66, v21 offset:2176                           // 0000000121E4: D86C0880 42000015
	ds_read_b32 v67, v21 offset:2240                           // 0000000121EC: D86C08C0 43000015
	ds_read_b32 v70, v21 offset:4352                           // 0000000121F4: D86C1100 46000015
	ds_read_b32 v71, v21 offset:4416                           // 0000000121FC: D86C1140 47000015
	ds_read_b32 v74, v21 offset:6528                           // 000000012204: D86C1980 4A000015
	ds_read_b32 v75, v21 offset:6592                           // 00000001220C: D86C19C0 4B000015
	ds_read_b32 v78, v21 offset:8704                           // 000000012214: D86C2200 4E000015
	ds_read_b32 v79, v21 offset:8768                           // 00000001221C: D86C2240 4F000015
	ds_read_b32 v82, v21 offset:10880                          // 000000012224: D86C2A80 52000015
	ds_read_b32 v83, v21 offset:10944                          // 00000001222C: D86C2AC0 53000015
	ds_read_b32 v86, v21 offset:13056                          // 000000012234: D86C3300 56000015
	ds_read_b32 v87, v21 offset:13120                          // 00000001223C: D86C3340 57000015
	ds_read_b32 v90, v21 offset:15232                          // 000000012244: D86C3B80 5A000015
	ds_read_b32 v91, v21 offset:15296                          // 00000001224C: D86C3BC0 5B000015
	ds_read_b32 v94, v21 offset:17408                          // 000000012254: D86C4400 5E000015
	ds_read_b32 v95, v21 offset:17472                          // 00000001225C: D86C4440 5F000015
	ds_read_b32 v98, v21 offset:19584                          // 000000012264: D86C4C80 62000015
	ds_read_b32 v99, v21 offset:19648                          // 00000001226C: D86C4CC0 63000015
	ds_read_b32 v102, v21 offset:21760                         // 000000012274: D86C5500 66000015
	ds_read_b32 v103, v21 offset:21824                         // 00000001227C: D86C5540 67000015
	ds_read_b32 v106, v21 offset:23936                         // 000000012284: D86C5D80 6A000015
	ds_read_b32 v107, v21 offset:24000                         // 00000001228C: D86C5DC0 6B000015
	ds_read_b32 v110, v21 offset:26112                         // 000000012294: D86C6600 6E000015
	ds_read_b32 v111, v21 offset:26176                         // 00000001229C: D86C6640 6F000015
	ds_read_b32 v114, v21 offset:28288                         // 0000000122A4: D86C6E80 72000015
	ds_read_b32 v115, v21 offset:28352                         // 0000000122AC: D86C6EC0 73000015
	ds_read_b32 v118, v21 offset:30464                         // 0000000122B4: D86C7700 76000015
	ds_read_b32 v119, v21 offset:30528                         // 0000000122BC: D86C7740 77000015
	ds_read_b32 v122, v21 offset:32640                         // 0000000122C4: D86C7F80 7A000015
	ds_read_b32 v123, v21 offset:32704                         // 0000000122CC: D86C7FC0 7B000015
	ds_read_b32 v126, v21 offset:34816                         // 0000000122D4: D86C8800 7E000015
	ds_read_b32 v127, v21 offset:34880                         // 0000000122DC: D86C8840 7F000015
	ds_read_b32 v130, v21 offset:36992                         // 0000000122E4: D86C9080 82000015
	ds_read_b32 v131, v21 offset:37056                         // 0000000122EC: D86C90C0 83000015
	ds_read_b32 v134, v21 offset:39168                         // 0000000122F4: D86C9900 86000015
	ds_read_b32 v135, v21 offset:39232                         // 0000000122FC: D86C9940 87000015
	ds_read_b32 v138, v21 offset:41344                         // 000000012304: D86CA180 8A000015
	ds_read_b32 v139, v21 offset:41408                         // 00000001230C: D86CA1C0 8B000015
	ds_read_b32 v142, v21 offset:43520                         // 000000012314: D86CAA00 8E000015
	ds_read_b32 v143, v21 offset:43584                         // 00000001231C: D86CAA40 8F000015
	ds_read_b32 v146, v21 offset:45696                         // 000000012324: D86CB280 92000015
	ds_read_b32 v147, v21 offset:45760                         // 00000001232C: D86CB2C0 93000015
	ds_read_b32 v150, v21 offset:47872                         // 000000012334: D86CBB00 96000015
	ds_read_b32 v151, v21 offset:47936                         // 00000001233C: D86CBB40 97000015
	ds_read_b32 v154, v21 offset:50048                         // 000000012344: D86CC380 9A000015
	ds_read_b32 v155, v21 offset:50112                         // 00000001234C: D86CC3C0 9B000015
	s_waitcnt lgkmcnt(0)                                       // 000000012354: BF8CC07F
	v_mov_b32_e32 v7, 0                                        // 000000012358: 7E0E0280
	s_mov_b64 exec, s[36:37]                                   // 00000001235C: BEFE0124
	v_mov_b32_e32 v6, v43                                      // 000000012360: 7E0C032B
	s_mov_b64 s[60:61], 0                                      // 000000012364: BEBC0180
	v_readlane_b32 s82, v3, 0                                  // 000000012368: D2890052 00010103
	s_and_b32 s82, s82, 0xffffff                               // 000000012370: 8652FF52 00FFFFFF
	s_cmp_lt_u32 s82, s66                                      // 000000012378: BF0A4252
	s_cselect_b32 s20, s36, s60                                // 00000001237C: 85143C24
	v_readlane_b32 s82, v3, 1                                  // 000000012380: D2890052 00010303
	s_and_b32 s82, s82, 0xffffff                               // 000000012388: 8652FF52 00FFFFFF
	s_cmp_lt_u32 s82, s66                                      // 000000012390: BF0A4252
	s_cselect_b32 s21, s36, s60                                // 000000012394: 85153C24
	s_mov_b64 exec, s[20:21]                                   // 000000012398: BEFE0114
	global_atomic_add_f32 v6, v62, s[8:9] offset:8             // 00000001239C: DD348008 00083E06
	global_atomic_add_f32 v6, v66, s[8:9] offset:264           // 0000000123A4: DD348108 00084206
	global_atomic_add_f32 v6, v70, s[8:9] offset:520           // 0000000123AC: DD348208 00084606
	global_atomic_add_f32 v6, v74, s[8:9] offset:776           // 0000000123B4: DD348308 00084A06
	global_atomic_add_f32 v6, v78, s[8:9] offset:1032          // 0000000123BC: DD348408 00084E06
	global_atomic_add_f32 v6, v82, s[8:9] offset:1288          // 0000000123C4: DD348508 00085206
	global_atomic_add_f32 v6, v86, s[8:9] offset:1544          // 0000000123CC: DD348608 00085606
	global_atomic_add_f32 v6, v90, s[8:9] offset:1800          // 0000000123D4: DD348708 00085A06
	s_mov_b64 exec, s[36:37]                                   // 0000000123DC: BEFE0124
	v_mov_b32_e32 v6, v44                                      // 0000000123E0: 7E0C032C
	s_mov_b64 s[60:61], 0                                      // 0000000123E4: BEBC0180
	v_readlane_b32 s82, v3, 2                                  // 0000000123E8: D2890052 00010503
	s_and_b32 s82, s82, 0xffffff                               // 0000000123F0: 8652FF52 00FFFFFF
	s_cmp_lt_u32 s82, s66                                      // 0000000123F8: BF0A4252
	s_cselect_b32 s20, s36, s60                                // 0000000123FC: 85143C24
	v_readlane_b32 s82, v3, 3                                  // 000000012400: D2890052 00010703
	s_and_b32 s82, s82, 0xffffff                               // 000000012408: 8652FF52 00FFFFFF
	s_cmp_lt_u32 s82, s66                                      // 000000012410: BF0A4252
	s_cselect_b32 s21, s36, s60                                // 000000012414: 85153C24
	s_mov_b64 exec, s[20:21]                                   // 000000012418: BEFE0114
	global_atomic_add_f32 v6, v63, s[8:9] offset:8             // 00000001241C: DD348008 00083F06
	global_atomic_add_f32 v6, v67, s[8:9] offset:264           // 000000012424: DD348108 00084306
	global_atomic_add_f32 v6, v71, s[8:9] offset:520           // 00000001242C: DD348208 00084706
	global_atomic_add_f32 v6, v75, s[8:9] offset:776           // 000000012434: DD348308 00084B06
	global_atomic_add_f32 v6, v79, s[8:9] offset:1032          // 00000001243C: DD348408 00084F06
	global_atomic_add_f32 v6, v83, s[8:9] offset:1288          // 000000012444: DD348508 00085306
	global_atomic_add_f32 v6, v87, s[8:9] offset:1544          // 00000001244C: DD348608 00085706
	global_atomic_add_f32 v6, v91, s[8:9] offset:1800          // 000000012454: DD348708 00085B06
	s_mov_b64 exec, s[36:37]                                   // 00000001245C: BEFE0124
	v_mov_b32_e32 v6, v45                                      // 000000012460: 7E0C032D
	s_mov_b64 s[60:61], 0                                      // 000000012464: BEBC0180
	v_readlane_b32 s82, v3, 4                                  // 000000012468: D2890052 00010903
	s_and_b32 s82, s82, 0xffffff                               // 000000012470: 8652FF52 00FFFFFF
	s_cmp_lt_u32 s82, s66                                      // 000000012478: BF0A4252
	s_cselect_b32 s20, s36, s60                                // 00000001247C: 85143C24
	v_readlane_b32 s82, v3, 5                                  // 000000012480: D2890052 00010B03
	s_and_b32 s82, s82, 0xffffff                               // 000000012488: 8652FF52 00FFFFFF
	s_cmp_lt_u32 s82, s66                                      // 000000012490: BF0A4252
	s_cselect_b32 s21, s36, s60                                // 000000012494: 85153C24
	s_mov_b64 exec, s[20:21]                                   // 000000012498: BEFE0114
	global_atomic_add_f32 v6, v94, s[8:9] offset:8             // 00000001249C: DD348008 00085E06
	global_atomic_add_f32 v6, v98, s[8:9] offset:264           // 0000000124A4: DD348108 00086206
	global_atomic_add_f32 v6, v102, s[8:9] offset:520          // 0000000124AC: DD348208 00086606
	global_atomic_add_f32 v6, v106, s[8:9] offset:776          // 0000000124B4: DD348308 00086A06
	global_atomic_add_f32 v6, v110, s[8:9] offset:1032         // 0000000124BC: DD348408 00086E06
	global_atomic_add_f32 v6, v114, s[8:9] offset:1288         // 0000000124C4: DD348508 00087206
	global_atomic_add_f32 v6, v118, s[8:9] offset:1544         // 0000000124CC: DD348608 00087606
	global_atomic_add_f32 v6, v122, s[8:9] offset:1800         // 0000000124D4: DD348708 00087A06
	s_mov_b64 exec, s[36:37]                                   // 0000000124DC: BEFE0124
	v_mov_b32_e32 v6, v46                                      // 0000000124E0: 7E0C032E
	s_mov_b64 s[60:61], 0                                      // 0000000124E4: BEBC0180
	v_readlane_b32 s82, v3, 6                                  // 0000000124E8: D2890052 00010D03
	s_and_b32 s82, s82, 0xffffff                               // 0000000124F0: 8652FF52 00FFFFFF
	s_cmp_lt_u32 s82, s66                                      // 0000000124F8: BF0A4252
	s_cselect_b32 s20, s36, s60                                // 0000000124FC: 85143C24
	v_readlane_b32 s82, v3, 7                                  // 000000012500: D2890052 00010F03
	s_and_b32 s82, s82, 0xffffff                               // 000000012508: 8652FF52 00FFFFFF
	s_cmp_lt_u32 s82, s66                                      // 000000012510: BF0A4252
	s_cselect_b32 s21, s36, s60                                // 000000012514: 85153C24
	s_mov_b64 exec, s[20:21]                                   // 000000012518: BEFE0114
	global_atomic_add_f32 v6, v95, s[8:9] offset:8             // 00000001251C: DD348008 00085F06
	global_atomic_add_f32 v6, v99, s[8:9] offset:264           // 000000012524: DD348108 00086306
	global_atomic_add_f32 v6, v103, s[8:9] offset:520          // 00000001252C: DD348208 00086706
	global_atomic_add_f32 v6, v107, s[8:9] offset:776          // 000000012534: DD348308 00086B06
	global_atomic_add_f32 v6, v111, s[8:9] offset:1032         // 00000001253C: DD348408 00086F06
	global_atomic_add_f32 v6, v115, s[8:9] offset:1288         // 000000012544: DD348508 00087306
	global_atomic_add_f32 v6, v119, s[8:9] offset:1544         // 00000001254C: DD348608 00087706
	global_atomic_add_f32 v6, v123, s[8:9] offset:1800         // 000000012554: DD348708 00087B06
	s_mov_b64 exec, s[36:37]                                   // 00000001255C: BEFE0124
	v_mov_b32_e32 v6, v47                                      // 000000012560: 7E0C032F
	s_mov_b64 s[60:61], 0                                      // 000000012564: BEBC0180
	v_readlane_b32 s82, v3, 8                                  // 000000012568: D2890052 00011103
	s_and_b32 s82, s82, 0xffffff                               // 000000012570: 8652FF52 00FFFFFF
	s_cmp_lt_u32 s82, s66                                      // 000000012578: BF0A4252
	s_cselect_b32 s20, s36, s60                                // 00000001257C: 85143C24
	v_readlane_b32 s82, v3, 9                                  // 000000012580: D2890052 00011303
	s_and_b32 s82, s82, 0xffffff                               // 000000012588: 8652FF52 00FFFFFF
	s_cmp_lt_u32 s82, s66                                      // 000000012590: BF0A4252
	s_cselect_b32 s21, s36, s60                                // 000000012594: 85153C24
	s_mov_b64 exec, s[20:21]                                   // 000000012598: BEFE0114
	global_atomic_add_f32 v6, v126, s[8:9] offset:8            // 00000001259C: DD348008 00087E06
	global_atomic_add_f32 v6, v130, s[8:9] offset:264          // 0000000125A4: DD348108 00088206
	global_atomic_add_f32 v6, v134, s[8:9] offset:520          // 0000000125AC: DD348208 00088606
	global_atomic_add_f32 v6, v138, s[8:9] offset:776          // 0000000125B4: DD348308 00088A06
	global_atomic_add_f32 v6, v142, s[8:9] offset:1032         // 0000000125BC: DD348408 00088E06
	global_atomic_add_f32 v6, v146, s[8:9] offset:1288         // 0000000125C4: DD348508 00089206
	global_atomic_add_f32 v6, v150, s[8:9] offset:1544         // 0000000125CC: DD348608 00089606
	global_atomic_add_f32 v6, v154, s[8:9] offset:1800         // 0000000125D4: DD348708 00089A06
	s_mov_b64 exec, s[36:37]                                   // 0000000125DC: BEFE0124
	v_mov_b32_e32 v6, v48                                      // 0000000125E0: 7E0C0330
	s_mov_b64 s[60:61], 0                                      // 0000000125E4: BEBC0180
	v_readlane_b32 s82, v3, 10                                 // 0000000125E8: D2890052 00011503
	s_and_b32 s82, s82, 0xffffff                               // 0000000125F0: 8652FF52 00FFFFFF
	s_cmp_lt_u32 s82, s66                                      // 0000000125F8: BF0A4252
	s_cselect_b32 s20, s36, s60                                // 0000000125FC: 85143C24
	v_readlane_b32 s82, v3, 11                                 // 000000012600: D2890052 00011703
	s_and_b32 s82, s82, 0xffffff                               // 000000012608: 8652FF52 00FFFFFF
	s_cmp_lt_u32 s82, s66                                      // 000000012610: BF0A4252
	s_cselect_b32 s21, s36, s60                                // 000000012614: 85153C24
	s_mov_b64 exec, s[20:21]                                   // 000000012618: BEFE0114
	global_atomic_add_f32 v6, v127, s[8:9] offset:8            // 00000001261C: DD348008 00087F06
	global_atomic_add_f32 v6, v131, s[8:9] offset:264          // 000000012624: DD348108 00088306
	global_atomic_add_f32 v6, v135, s[8:9] offset:520          // 00000001262C: DD348208 00088706
	global_atomic_add_f32 v6, v139, s[8:9] offset:776          // 000000012634: DD348308 00088B06
	global_atomic_add_f32 v6, v143, s[8:9] offset:1032         // 00000001263C: DD348408 00088F06
	global_atomic_add_f32 v6, v147, s[8:9] offset:1288         // 000000012644: DD348508 00089306
	global_atomic_add_f32 v6, v151, s[8:9] offset:1544         // 00000001264C: DD348608 00089706
	global_atomic_add_f32 v6, v155, s[8:9] offset:1800         // 000000012654: DD348708 00089B06
	s_mov_b64 exec, s[36:37]                                   // 00000001265C: BEFE0124
	ds_write_b64 v20, v[156:157]                               // 000000012660: D89A0000 00009C14
	ds_write_b64 v20, v[160:161] offset:17408                  // 000000012668: D89A4400 0000A014
	ds_write_b64 v20, v[164:165] offset:34816                  // 000000012670: D89A8800 0000A414
	ds_write_b64 v20, v[168:169] offset:2176                   // 000000012678: D89A0880 0000A814
	ds_write_b64 v20, v[172:173] offset:19584                  // 000000012680: D89A4C80 0000AC14
	ds_write_b64 v20, v[176:177] offset:36992                  // 000000012688: D89A9080 0000B014
	ds_write_b64 v20, v[180:181] offset:4352                   // 000000012690: D89A1100 0000B414
	ds_write_b64 v20, v[184:185] offset:21760                  // 000000012698: D89A5500 0000B814
	ds_write_b64 v20, v[188:189] offset:39168                  // 0000000126A0: D89A9900 0000BC14
	ds_write_b64 v20, v[192:193] offset:6528                   // 0000000126A8: D89A1980 0000C014
	ds_write_b64 v20, v[196:197] offset:23936                  // 0000000126B0: D89A5D80 0000C414
	ds_write_b64 v20, v[200:201] offset:41344                  // 0000000126B8: D89AA180 0000C814
	ds_write_b64 v20, v[204:205] offset:8704                   // 0000000126C0: D89A2200 0000CC14
	ds_write_b64 v20, v[208:209] offset:26112                  // 0000000126C8: D89A6600 0000D014
	ds_write_b64 v20, v[212:213] offset:43520                  // 0000000126D0: D89AAA00 0000D414
	ds_write_b64 v20, v[216:217] offset:10880                  // 0000000126D8: D89A2A80 0000D814
	ds_write_b64 v20, v[220:221] offset:28288                  // 0000000126E0: D89A6E80 0000DC14
	ds_write_b64 v20, v[224:225] offset:45696                  // 0000000126E8: D89AB280 0000E014
	ds_write_b64 v20, v[228:229] offset:13056                  // 0000000126F0: D89A3300 0000E414
	ds_write_b64 v20, v[232:233] offset:30464                  // 0000000126F8: D89A7700 0000E814
	ds_write_b64 v20, v[236:237] offset:47872                  // 000000012700: D89ABB00 0000EC14
	ds_write_b64 v20, v[240:241] offset:15232                  // 000000012708: D89A3B80 0000F014
	ds_write_b64 v20, v[244:245] offset:32640                  // 000000012710: D89A7F80 0000F414
	ds_write_b64 v20, v[248:249] offset:50048                  // 000000012718: D89AC380 0000F814
	s_waitcnt lgkmcnt(0)                                       // 000000012720: BF8CC07F
	s_barrier                                                  // 000000012724: BF8A0000
	ds_read_b32 v156, v21                                      // 000000012728: D86C0000 9C000015
	ds_read_b32 v157, v21 offset:64                            // 000000012730: D86C0040 9D000015
	ds_read_b32 v160, v21 offset:2176                          // 000000012738: D86C0880 A0000015
	ds_read_b32 v161, v21 offset:2240                          // 000000012740: D86C08C0 A1000015
	ds_read_b32 v164, v21 offset:4352                          // 000000012748: D86C1100 A4000015
	ds_read_b32 v165, v21 offset:4416                          // 000000012750: D86C1140 A5000015
	ds_read_b32 v168, v21 offset:6528                          // 000000012758: D86C1980 A8000015
	ds_read_b32 v169, v21 offset:6592                          // 000000012760: D86C19C0 A9000015
	ds_read_b32 v172, v21 offset:8704                          // 000000012768: D86C2200 AC000015
	ds_read_b32 v173, v21 offset:8768                          // 000000012770: D86C2240 AD000015
	ds_read_b32 v176, v21 offset:10880                         // 000000012778: D86C2A80 B0000015
	ds_read_b32 v177, v21 offset:10944                         // 000000012780: D86C2AC0 B1000015
	ds_read_b32 v180, v21 offset:13056                         // 000000012788: D86C3300 B4000015
	ds_read_b32 v181, v21 offset:13120                         // 000000012790: D86C3340 B5000015
	ds_read_b32 v184, v21 offset:15232                         // 000000012798: D86C3B80 B8000015
	ds_read_b32 v185, v21 offset:15296                         // 0000000127A0: D86C3BC0 B9000015
	ds_read_b32 v188, v21 offset:17408                         // 0000000127A8: D86C4400 BC000015
	ds_read_b32 v189, v21 offset:17472                         // 0000000127B0: D86C4440 BD000015
	ds_read_b32 v192, v21 offset:19584                         // 0000000127B8: D86C4C80 C0000015
	ds_read_b32 v193, v21 offset:19648                         // 0000000127C0: D86C4CC0 C1000015
	ds_read_b32 v196, v21 offset:21760                         // 0000000127C8: D86C5500 C4000015
	ds_read_b32 v197, v21 offset:21824                         // 0000000127D0: D86C5540 C5000015
	ds_read_b32 v200, v21 offset:23936                         // 0000000127D8: D86C5D80 C8000015
	ds_read_b32 v201, v21 offset:24000                         // 0000000127E0: D86C5DC0 C9000015
	ds_read_b32 v204, v21 offset:26112                         // 0000000127E8: D86C6600 CC000015
	ds_read_b32 v205, v21 offset:26176                         // 0000000127F0: D86C6640 CD000015
	ds_read_b32 v208, v21 offset:28288                         // 0000000127F8: D86C6E80 D0000015
	ds_read_b32 v209, v21 offset:28352                         // 000000012800: D86C6EC0 D1000015
	ds_read_b32 v212, v21 offset:30464                         // 000000012808: D86C7700 D4000015
	ds_read_b32 v213, v21 offset:30528                         // 000000012810: D86C7740 D5000015
	ds_read_b32 v216, v21 offset:32640                         // 000000012818: D86C7F80 D8000015
	ds_read_b32 v217, v21 offset:32704                         // 000000012820: D86C7FC0 D9000015
	ds_read_b32 v220, v21 offset:34816                         // 000000012828: D86C8800 DC000015
	ds_read_b32 v221, v21 offset:34880                         // 000000012830: D86C8840 DD000015
	ds_read_b32 v224, v21 offset:36992                         // 000000012838: D86C9080 E0000015
	ds_read_b32 v225, v21 offset:37056                         // 000000012840: D86C90C0 E1000015
	ds_read_b32 v228, v21 offset:39168                         // 000000012848: D86C9900 E4000015
	ds_read_b32 v229, v21 offset:39232                         // 000000012850: D86C9940 E5000015
	ds_read_b32 v232, v21 offset:41344                         // 000000012858: D86CA180 E8000015
	ds_read_b32 v233, v21 offset:41408                         // 000000012860: D86CA1C0 E9000015
	ds_read_b32 v236, v21 offset:43520                         // 000000012868: D86CAA00 EC000015
	ds_read_b32 v237, v21 offset:43584                         // 000000012870: D86CAA40 ED000015
	ds_read_b32 v240, v21 offset:45696                         // 000000012878: D86CB280 F0000015
	ds_read_b32 v241, v21 offset:45760                         // 000000012880: D86CB2C0 F1000015
	ds_read_b32 v244, v21 offset:47872                         // 000000012888: D86CBB00 F4000015
	ds_read_b32 v245, v21 offset:47936                         // 000000012890: D86CBB40 F5000015
	ds_read_b32 v248, v21 offset:50048                         // 000000012898: D86CC380 F8000015
	ds_read_b32 v249, v21 offset:50112                         // 0000000128A0: D86CC3C0 F9000015
	s_mul_i32 s60, s65, 4                                      // 0000000128A8: 923C8441
	s_add_u32 s8, s60, s8                                      // 0000000128AC: 8008083C
	s_addc_u32 s9, 0, s9                                       // 0000000128B0: 82090980
	s_waitcnt lgkmcnt(0)                                       // 0000000128B4: BF8CC07F
	v_mov_b32_e32 v7, 0                                        // 0000000128B8: 7E0E0280
	s_mov_b64 exec, s[36:37]                                   // 0000000128BC: BEFE0124
	v_mov_b32_e32 v6, v43                                      // 0000000128C0: 7E0C032B
	s_mov_b64 s[60:61], 0                                      // 0000000128C4: BEBC0180
	v_readlane_b32 s82, v3, 0                                  // 0000000128C8: D2890052 00010103
	s_and_b32 s82, s82, 0xffffff                               // 0000000128D0: 8652FF52 00FFFFFF
	s_cmp_lt_u32 s82, s66                                      // 0000000128D8: BF0A4252
	s_cselect_b32 s20, s36, s60                                // 0000000128DC: 85143C24
	v_readlane_b32 s82, v3, 1                                  // 0000000128E0: D2890052 00010303
	s_and_b32 s82, s82, 0xffffff                               // 0000000128E8: 8652FF52 00FFFFFF
	s_cmp_lt_u32 s82, s66                                      // 0000000128F0: BF0A4252
	s_cselect_b32 s21, s36, s60                                // 0000000128F4: 85153C24
	s_mov_b64 exec, s[20:21]                                   // 0000000128F8: BEFE0114
	global_atomic_add_f32 v6, v156, s[8:9]                     // 0000000128FC: DD348000 00089C06
	global_atomic_add_f32 v6, v160, s[8:9] offset:256          // 000000012904: DD348100 0008A006
	global_atomic_add_f32 v6, v164, s[8:9] offset:512          // 00000001290C: DD348200 0008A406
	global_atomic_add_f32 v6, v168, s[8:9] offset:768          // 000000012914: DD348300 0008A806
	global_atomic_add_f32 v6, v172, s[8:9] offset:1024         // 00000001291C: DD348400 0008AC06
	global_atomic_add_f32 v6, v176, s[8:9] offset:1280         // 000000012924: DD348500 0008B006
	global_atomic_add_f32 v6, v180, s[8:9] offset:1536         // 00000001292C: DD348600 0008B406
	global_atomic_add_f32 v6, v184, s[8:9] offset:1792         // 000000012934: DD348700 0008B806
	s_mov_b64 exec, s[36:37]                                   // 00000001293C: BEFE0124
	v_mov_b32_e32 v6, v44                                      // 000000012940: 7E0C032C
	s_mov_b64 s[60:61], 0                                      // 000000012944: BEBC0180
	v_readlane_b32 s82, v3, 2                                  // 000000012948: D2890052 00010503
	s_and_b32 s82, s82, 0xffffff                               // 000000012950: 8652FF52 00FFFFFF
	s_cmp_lt_u32 s82, s66                                      // 000000012958: BF0A4252
	s_cselect_b32 s20, s36, s60                                // 00000001295C: 85143C24
	v_readlane_b32 s82, v3, 3                                  // 000000012960: D2890052 00010703
	s_and_b32 s82, s82, 0xffffff                               // 000000012968: 8652FF52 00FFFFFF
	s_cmp_lt_u32 s82, s66                                      // 000000012970: BF0A4252
	s_cselect_b32 s21, s36, s60                                // 000000012974: 85153C24
	s_mov_b64 exec, s[20:21]                                   // 000000012978: BEFE0114
	global_atomic_add_f32 v6, v157, s[8:9]                     // 00000001297C: DD348000 00089D06
	global_atomic_add_f32 v6, v161, s[8:9] offset:256          // 000000012984: DD348100 0008A106
	global_atomic_add_f32 v6, v165, s[8:9] offset:512          // 00000001298C: DD348200 0008A506
	global_atomic_add_f32 v6, v169, s[8:9] offset:768          // 000000012994: DD348300 0008A906
	global_atomic_add_f32 v6, v173, s[8:9] offset:1024         // 00000001299C: DD348400 0008AD06
	global_atomic_add_f32 v6, v177, s[8:9] offset:1280         // 0000000129A4: DD348500 0008B106
	global_atomic_add_f32 v6, v181, s[8:9] offset:1536         // 0000000129AC: DD348600 0008B506
	global_atomic_add_f32 v6, v185, s[8:9] offset:1792         // 0000000129B4: DD348700 0008B906
	s_mov_b64 exec, s[36:37]                                   // 0000000129BC: BEFE0124
	v_mov_b32_e32 v6, v45                                      // 0000000129C0: 7E0C032D
	s_mov_b64 s[60:61], 0                                      // 0000000129C4: BEBC0180
	v_readlane_b32 s82, v3, 4                                  // 0000000129C8: D2890052 00010903
	s_and_b32 s82, s82, 0xffffff                               // 0000000129D0: 8652FF52 00FFFFFF
	s_cmp_lt_u32 s82, s66                                      // 0000000129D8: BF0A4252
	s_cselect_b32 s20, s36, s60                                // 0000000129DC: 85143C24
	v_readlane_b32 s82, v3, 5                                  // 0000000129E0: D2890052 00010B03
	s_and_b32 s82, s82, 0xffffff                               // 0000000129E8: 8652FF52 00FFFFFF
	s_cmp_lt_u32 s82, s66                                      // 0000000129F0: BF0A4252
	s_cselect_b32 s21, s36, s60                                // 0000000129F4: 85153C24
	s_mov_b64 exec, s[20:21]                                   // 0000000129F8: BEFE0114
	global_atomic_add_f32 v6, v188, s[8:9]                     // 0000000129FC: DD348000 0008BC06
	global_atomic_add_f32 v6, v192, s[8:9] offset:256          // 000000012A04: DD348100 0008C006
	global_atomic_add_f32 v6, v196, s[8:9] offset:512          // 000000012A0C: DD348200 0008C406
	global_atomic_add_f32 v6, v200, s[8:9] offset:768          // 000000012A14: DD348300 0008C806
	global_atomic_add_f32 v6, v204, s[8:9] offset:1024         // 000000012A1C: DD348400 0008CC06
	global_atomic_add_f32 v6, v208, s[8:9] offset:1280         // 000000012A24: DD348500 0008D006
	global_atomic_add_f32 v6, v212, s[8:9] offset:1536         // 000000012A2C: DD348600 0008D406
	global_atomic_add_f32 v6, v216, s[8:9] offset:1792         // 000000012A34: DD348700 0008D806
	s_mov_b64 exec, s[36:37]                                   // 000000012A3C: BEFE0124
	v_mov_b32_e32 v6, v46                                      // 000000012A40: 7E0C032E
	s_mov_b64 s[60:61], 0                                      // 000000012A44: BEBC0180
	v_readlane_b32 s82, v3, 6                                  // 000000012A48: D2890052 00010D03
	s_and_b32 s82, s82, 0xffffff                               // 000000012A50: 8652FF52 00FFFFFF
	s_cmp_lt_u32 s82, s66                                      // 000000012A58: BF0A4252
	s_cselect_b32 s20, s36, s60                                // 000000012A5C: 85143C24
	v_readlane_b32 s82, v3, 7                                  // 000000012A60: D2890052 00010F03
	s_and_b32 s82, s82, 0xffffff                               // 000000012A68: 8652FF52 00FFFFFF
	s_cmp_lt_u32 s82, s66                                      // 000000012A70: BF0A4252
	s_cselect_b32 s21, s36, s60                                // 000000012A74: 85153C24
	s_mov_b64 exec, s[20:21]                                   // 000000012A78: BEFE0114
	global_atomic_add_f32 v6, v189, s[8:9]                     // 000000012A7C: DD348000 0008BD06
	global_atomic_add_f32 v6, v193, s[8:9] offset:256          // 000000012A84: DD348100 0008C106
	global_atomic_add_f32 v6, v197, s[8:9] offset:512          // 000000012A8C: DD348200 0008C506
	global_atomic_add_f32 v6, v201, s[8:9] offset:768          // 000000012A94: DD348300 0008C906
	global_atomic_add_f32 v6, v205, s[8:9] offset:1024         // 000000012A9C: DD348400 0008CD06
	global_atomic_add_f32 v6, v209, s[8:9] offset:1280         // 000000012AA4: DD348500 0008D106
	global_atomic_add_f32 v6, v213, s[8:9] offset:1536         // 000000012AAC: DD348600 0008D506
	global_atomic_add_f32 v6, v217, s[8:9] offset:1792         // 000000012AB4: DD348700 0008D906
	s_mov_b64 exec, s[36:37]                                   // 000000012ABC: BEFE0124
	v_mov_b32_e32 v6, v47                                      // 000000012AC0: 7E0C032F
	s_mov_b64 s[60:61], 0                                      // 000000012AC4: BEBC0180
	v_readlane_b32 s82, v3, 8                                  // 000000012AC8: D2890052 00011103
	s_and_b32 s82, s82, 0xffffff                               // 000000012AD0: 8652FF52 00FFFFFF
	s_cmp_lt_u32 s82, s66                                      // 000000012AD8: BF0A4252
	s_cselect_b32 s20, s36, s60                                // 000000012ADC: 85143C24
	v_readlane_b32 s82, v3, 9                                  // 000000012AE0: D2890052 00011303
	s_and_b32 s82, s82, 0xffffff                               // 000000012AE8: 8652FF52 00FFFFFF
	s_cmp_lt_u32 s82, s66                                      // 000000012AF0: BF0A4252
	s_cselect_b32 s21, s36, s60                                // 000000012AF4: 85153C24
	s_mov_b64 exec, s[20:21]                                   // 000000012AF8: BEFE0114
	global_atomic_add_f32 v6, v220, s[8:9]                     // 000000012AFC: DD348000 0008DC06
	global_atomic_add_f32 v6, v224, s[8:9] offset:256          // 000000012B04: DD348100 0008E006
	global_atomic_add_f32 v6, v228, s[8:9] offset:512          // 000000012B0C: DD348200 0008E406
	global_atomic_add_f32 v6, v232, s[8:9] offset:768          // 000000012B14: DD348300 0008E806
	global_atomic_add_f32 v6, v236, s[8:9] offset:1024         // 000000012B1C: DD348400 0008EC06
	global_atomic_add_f32 v6, v240, s[8:9] offset:1280         // 000000012B24: DD348500 0008F006
	global_atomic_add_f32 v6, v244, s[8:9] offset:1536         // 000000012B2C: DD348600 0008F406
	global_atomic_add_f32 v6, v248, s[8:9] offset:1792         // 000000012B34: DD348700 0008F806
	s_mov_b64 exec, s[36:37]                                   // 000000012B3C: BEFE0124
	v_mov_b32_e32 v6, v48                                      // 000000012B40: 7E0C0330
	s_mov_b64 s[60:61], 0                                      // 000000012B44: BEBC0180
	v_readlane_b32 s82, v3, 10                                 // 000000012B48: D2890052 00011503
	s_and_b32 s82, s82, 0xffffff                               // 000000012B50: 8652FF52 00FFFFFF
	s_cmp_lt_u32 s82, s66                                      // 000000012B58: BF0A4252
	s_cselect_b32 s20, s36, s60                                // 000000012B5C: 85143C24
	v_readlane_b32 s82, v3, 11                                 // 000000012B60: D2890052 00011703
	s_and_b32 s82, s82, 0xffffff                               // 000000012B68: 8652FF52 00FFFFFF
	s_cmp_lt_u32 s82, s66                                      // 000000012B70: BF0A4252
	s_cselect_b32 s21, s36, s60                                // 000000012B74: 85153C24
	s_mov_b64 exec, s[20:21]                                   // 000000012B78: BEFE0114
	global_atomic_add_f32 v6, v221, s[8:9]                     // 000000012B7C: DD348000 0008DD06
	global_atomic_add_f32 v6, v225, s[8:9] offset:256          // 000000012B84: DD348100 0008E106
	global_atomic_add_f32 v6, v229, s[8:9] offset:512          // 000000012B8C: DD348200 0008E506
	global_atomic_add_f32 v6, v233, s[8:9] offset:768          // 000000012B94: DD348300 0008E906
	global_atomic_add_f32 v6, v237, s[8:9] offset:1024         // 000000012B9C: DD348400 0008ED06
	global_atomic_add_f32 v6, v241, s[8:9] offset:1280         // 000000012BA4: DD348500 0008F106
	global_atomic_add_f32 v6, v245, s[8:9] offset:1536         // 000000012BAC: DD348600 0008F506
	global_atomic_add_f32 v6, v249, s[8:9] offset:1792         // 000000012BB4: DD348700 0008F906
	s_mov_b64 exec, s[36:37]                                   // 000000012BBC: BEFE0124
	ds_write_b64 v20, v[158:159]                               // 000000012BC0: D89A0000 00009E14
	ds_write_b64 v20, v[162:163] offset:17408                  // 000000012BC8: D89A4400 0000A214
	ds_write_b64 v20, v[166:167] offset:34816                  // 000000012BD0: D89A8800 0000A614
	ds_write_b64 v20, v[170:171] offset:2176                   // 000000012BD8: D89A0880 0000AA14
	ds_write_b64 v20, v[174:175] offset:19584                  // 000000012BE0: D89A4C80 0000AE14
	ds_write_b64 v20, v[178:179] offset:36992                  // 000000012BE8: D89A9080 0000B214
	ds_write_b64 v20, v[182:183] offset:4352                   // 000000012BF0: D89A1100 0000B614
	ds_write_b64 v20, v[186:187] offset:21760                  // 000000012BF8: D89A5500 0000BA14
	ds_write_b64 v20, v[190:191] offset:39168                  // 000000012C00: D89A9900 0000BE14
	ds_write_b64 v20, v[194:195] offset:6528                   // 000000012C08: D89A1980 0000C214
	ds_write_b64 v20, v[198:199] offset:23936                  // 000000012C10: D89A5D80 0000C614
	ds_write_b64 v20, v[202:203] offset:41344                  // 000000012C18: D89AA180 0000CA14
	ds_write_b64 v20, v[206:207] offset:8704                   // 000000012C20: D89A2200 0000CE14
	ds_write_b64 v20, v[210:211] offset:26112                  // 000000012C28: D89A6600 0000D214
	ds_write_b64 v20, v[214:215] offset:43520                  // 000000012C30: D89AAA00 0000D614
	ds_write_b64 v20, v[218:219] offset:10880                  // 000000012C38: D89A2A80 0000DA14
	ds_write_b64 v20, v[222:223] offset:28288                  // 000000012C40: D89A6E80 0000DE14
	ds_write_b64 v20, v[226:227] offset:45696                  // 000000012C48: D89AB280 0000E214
	ds_write_b64 v20, v[230:231] offset:13056                  // 000000012C50: D89A3300 0000E614
	ds_write_b64 v20, v[234:235] offset:30464                  // 000000012C58: D89A7700 0000EA14
	ds_write_b64 v20, v[238:239] offset:47872                  // 000000012C60: D89ABB00 0000EE14
	ds_write_b64 v20, v[242:243] offset:15232                  // 000000012C68: D89A3B80 0000F214
	ds_write_b64 v20, v[246:247] offset:32640                  // 000000012C70: D89A7F80 0000F614
	ds_write_b64 v20, v[250:251] offset:50048                  // 000000012C78: D89AC380 0000FA14
	s_waitcnt lgkmcnt(0)                                       // 000000012C80: BF8CC07F
	s_barrier                                                  // 000000012C84: BF8A0000
	ds_read_b32 v158, v21                                      // 000000012C88: D86C0000 9E000015
	ds_read_b32 v159, v21 offset:64                            // 000000012C90: D86C0040 9F000015
	ds_read_b32 v162, v21 offset:2176                          // 000000012C98: D86C0880 A2000015
	ds_read_b32 v163, v21 offset:2240                          // 000000012CA0: D86C08C0 A3000015
	ds_read_b32 v166, v21 offset:4352                          // 000000012CA8: D86C1100 A6000015
	ds_read_b32 v167, v21 offset:4416                          // 000000012CB0: D86C1140 A7000015
	ds_read_b32 v170, v21 offset:6528                          // 000000012CB8: D86C1980 AA000015
	ds_read_b32 v171, v21 offset:6592                          // 000000012CC0: D86C19C0 AB000015
	ds_read_b32 v174, v21 offset:8704                          // 000000012CC8: D86C2200 AE000015
	ds_read_b32 v175, v21 offset:8768                          // 000000012CD0: D86C2240 AF000015
	ds_read_b32 v178, v21 offset:10880                         // 000000012CD8: D86C2A80 B2000015
	ds_read_b32 v179, v21 offset:10944                         // 000000012CE0: D86C2AC0 B3000015
	ds_read_b32 v182, v21 offset:13056                         // 000000012CE8: D86C3300 B6000015
	ds_read_b32 v183, v21 offset:13120                         // 000000012CF0: D86C3340 B7000015
	ds_read_b32 v186, v21 offset:15232                         // 000000012CF8: D86C3B80 BA000015
	ds_read_b32 v187, v21 offset:15296                         // 000000012D00: D86C3BC0 BB000015
	ds_read_b32 v190, v21 offset:17408                         // 000000012D08: D86C4400 BE000015
	ds_read_b32 v191, v21 offset:17472                         // 000000012D10: D86C4440 BF000015
	ds_read_b32 v194, v21 offset:19584                         // 000000012D18: D86C4C80 C2000015
	ds_read_b32 v195, v21 offset:19648                         // 000000012D20: D86C4CC0 C3000015
	ds_read_b32 v198, v21 offset:21760                         // 000000012D28: D86C5500 C6000015
	ds_read_b32 v199, v21 offset:21824                         // 000000012D30: D86C5540 C7000015
	ds_read_b32 v202, v21 offset:23936                         // 000000012D38: D86C5D80 CA000015
	ds_read_b32 v203, v21 offset:24000                         // 000000012D40: D86C5DC0 CB000015
	ds_read_b32 v206, v21 offset:26112                         // 000000012D48: D86C6600 CE000015
	ds_read_b32 v207, v21 offset:26176                         // 000000012D50: D86C6640 CF000015
	ds_read_b32 v210, v21 offset:28288                         // 000000012D58: D86C6E80 D2000015
	ds_read_b32 v211, v21 offset:28352                         // 000000012D60: D86C6EC0 D3000015
	ds_read_b32 v214, v21 offset:30464                         // 000000012D68: D86C7700 D6000015
	ds_read_b32 v215, v21 offset:30528                         // 000000012D70: D86C7740 D7000015
	ds_read_b32 v218, v21 offset:32640                         // 000000012D78: D86C7F80 DA000015
	ds_read_b32 v219, v21 offset:32704                         // 000000012D80: D86C7FC0 DB000015
	ds_read_b32 v222, v21 offset:34816                         // 000000012D88: D86C8800 DE000015
	ds_read_b32 v223, v21 offset:34880                         // 000000012D90: D86C8840 DF000015
	ds_read_b32 v226, v21 offset:36992                         // 000000012D98: D86C9080 E2000015
	ds_read_b32 v227, v21 offset:37056                         // 000000012DA0: D86C90C0 E3000015
	ds_read_b32 v230, v21 offset:39168                         // 000000012DA8: D86C9900 E6000015
	ds_read_b32 v231, v21 offset:39232                         // 000000012DB0: D86C9940 E7000015
	ds_read_b32 v234, v21 offset:41344                         // 000000012DB8: D86CA180 EA000015
	ds_read_b32 v235, v21 offset:41408                         // 000000012DC0: D86CA1C0 EB000015
	ds_read_b32 v238, v21 offset:43520                         // 000000012DC8: D86CAA00 EE000015
	ds_read_b32 v239, v21 offset:43584                         // 000000012DD0: D86CAA40 EF000015
	ds_read_b32 v242, v21 offset:45696                         // 000000012DD8: D86CB280 F2000015
	ds_read_b32 v243, v21 offset:45760                         // 000000012DE0: D86CB2C0 F3000015
	ds_read_b32 v246, v21 offset:47872                         // 000000012DE8: D86CBB00 F6000015
	ds_read_b32 v247, v21 offset:47936                         // 000000012DF0: D86CBB40 F7000015
	ds_read_b32 v250, v21 offset:50048                         // 000000012DF8: D86CC380 FA000015
	ds_read_b32 v251, v21 offset:50112                         // 000000012E00: D86CC3C0 FB000015
	s_waitcnt lgkmcnt(0)                                       // 000000012E08: BF8CC07F
	v_mov_b32_e32 v7, 0                                        // 000000012E0C: 7E0E0280
	s_mov_b64 exec, s[36:37]                                   // 000000012E10: BEFE0124
	v_mov_b32_e32 v6, v43                                      // 000000012E14: 7E0C032B
	s_mov_b64 s[60:61], 0                                      // 000000012E18: BEBC0180
	v_readlane_b32 s82, v3, 0                                  // 000000012E1C: D2890052 00010103
	s_and_b32 s82, s82, 0xffffff                               // 000000012E24: 8652FF52 00FFFFFF
	s_cmp_lt_u32 s82, s66                                      // 000000012E2C: BF0A4252
	s_cselect_b32 s20, s36, s60                                // 000000012E30: 85143C24
	v_readlane_b32 s82, v3, 1                                  // 000000012E34: D2890052 00010303
	s_and_b32 s82, s82, 0xffffff                               // 000000012E3C: 8652FF52 00FFFFFF
	s_cmp_lt_u32 s82, s66                                      // 000000012E44: BF0A4252
	s_cselect_b32 s21, s36, s60                                // 000000012E48: 85153C24
	s_mov_b64 exec, s[20:21]                                   // 000000012E4C: BEFE0114
	global_atomic_add_f32 v6, v158, s[8:9] offset:8            // 000000012E50: DD348008 00089E06
	global_atomic_add_f32 v6, v162, s[8:9] offset:264          // 000000012E58: DD348108 0008A206
	global_atomic_add_f32 v6, v166, s[8:9] offset:520          // 000000012E60: DD348208 0008A606
	global_atomic_add_f32 v6, v170, s[8:9] offset:776          // 000000012E68: DD348308 0008AA06
	global_atomic_add_f32 v6, v174, s[8:9] offset:1032         // 000000012E70: DD348408 0008AE06
	global_atomic_add_f32 v6, v178, s[8:9] offset:1288         // 000000012E78: DD348508 0008B206
	global_atomic_add_f32 v6, v182, s[8:9] offset:1544         // 000000012E80: DD348608 0008B606
	global_atomic_add_f32 v6, v186, s[8:9] offset:1800         // 000000012E88: DD348708 0008BA06
	s_mov_b64 exec, s[36:37]                                   // 000000012E90: BEFE0124
	v_mov_b32_e32 v6, v44                                      // 000000012E94: 7E0C032C
	s_mov_b64 s[60:61], 0                                      // 000000012E98: BEBC0180
	v_readlane_b32 s82, v3, 2                                  // 000000012E9C: D2890052 00010503
	s_and_b32 s82, s82, 0xffffff                               // 000000012EA4: 8652FF52 00FFFFFF
	s_cmp_lt_u32 s82, s66                                      // 000000012EAC: BF0A4252
	s_cselect_b32 s20, s36, s60                                // 000000012EB0: 85143C24
	v_readlane_b32 s82, v3, 3                                  // 000000012EB4: D2890052 00010703
	s_and_b32 s82, s82, 0xffffff                               // 000000012EBC: 8652FF52 00FFFFFF
	s_cmp_lt_u32 s82, s66                                      // 000000012EC4: BF0A4252
	s_cselect_b32 s21, s36, s60                                // 000000012EC8: 85153C24
	s_mov_b64 exec, s[20:21]                                   // 000000012ECC: BEFE0114
	global_atomic_add_f32 v6, v159, s[8:9] offset:8            // 000000012ED0: DD348008 00089F06
	global_atomic_add_f32 v6, v163, s[8:9] offset:264          // 000000012ED8: DD348108 0008A306
	global_atomic_add_f32 v6, v167, s[8:9] offset:520          // 000000012EE0: DD348208 0008A706
	global_atomic_add_f32 v6, v171, s[8:9] offset:776          // 000000012EE8: DD348308 0008AB06
	global_atomic_add_f32 v6, v175, s[8:9] offset:1032         // 000000012EF0: DD348408 0008AF06
	global_atomic_add_f32 v6, v179, s[8:9] offset:1288         // 000000012EF8: DD348508 0008B306
	global_atomic_add_f32 v6, v183, s[8:9] offset:1544         // 000000012F00: DD348608 0008B706
	global_atomic_add_f32 v6, v187, s[8:9] offset:1800         // 000000012F08: DD348708 0008BB06
	s_mov_b64 exec, s[36:37]                                   // 000000012F10: BEFE0124
	v_mov_b32_e32 v6, v45                                      // 000000012F14: 7E0C032D
	s_mov_b64 s[60:61], 0                                      // 000000012F18: BEBC0180
	v_readlane_b32 s82, v3, 4                                  // 000000012F1C: D2890052 00010903
	s_and_b32 s82, s82, 0xffffff                               // 000000012F24: 8652FF52 00FFFFFF
	s_cmp_lt_u32 s82, s66                                      // 000000012F2C: BF0A4252
	s_cselect_b32 s20, s36, s60                                // 000000012F30: 85143C24
	v_readlane_b32 s82, v3, 5                                  // 000000012F34: D2890052 00010B03
	s_and_b32 s82, s82, 0xffffff                               // 000000012F3C: 8652FF52 00FFFFFF
	s_cmp_lt_u32 s82, s66                                      // 000000012F44: BF0A4252
	s_cselect_b32 s21, s36, s60                                // 000000012F48: 85153C24
	s_mov_b64 exec, s[20:21]                                   // 000000012F4C: BEFE0114
	global_atomic_add_f32 v6, v190, s[8:9] offset:8            // 000000012F50: DD348008 0008BE06
	global_atomic_add_f32 v6, v194, s[8:9] offset:264          // 000000012F58: DD348108 0008C206
	global_atomic_add_f32 v6, v198, s[8:9] offset:520          // 000000012F60: DD348208 0008C606
	global_atomic_add_f32 v6, v202, s[8:9] offset:776          // 000000012F68: DD348308 0008CA06
	global_atomic_add_f32 v6, v206, s[8:9] offset:1032         // 000000012F70: DD348408 0008CE06
	global_atomic_add_f32 v6, v210, s[8:9] offset:1288         // 000000012F78: DD348508 0008D206
	global_atomic_add_f32 v6, v214, s[8:9] offset:1544         // 000000012F80: DD348608 0008D606
	global_atomic_add_f32 v6, v218, s[8:9] offset:1800         // 000000012F88: DD348708 0008DA06
	s_mov_b64 exec, s[36:37]                                   // 000000012F90: BEFE0124
	v_mov_b32_e32 v6, v46                                      // 000000012F94: 7E0C032E
	s_mov_b64 s[60:61], 0                                      // 000000012F98: BEBC0180
	v_readlane_b32 s82, v3, 6                                  // 000000012F9C: D2890052 00010D03
	s_and_b32 s82, s82, 0xffffff                               // 000000012FA4: 8652FF52 00FFFFFF
	s_cmp_lt_u32 s82, s66                                      // 000000012FAC: BF0A4252
	s_cselect_b32 s20, s36, s60                                // 000000012FB0: 85143C24
	v_readlane_b32 s82, v3, 7                                  // 000000012FB4: D2890052 00010F03
	s_and_b32 s82, s82, 0xffffff                               // 000000012FBC: 8652FF52 00FFFFFF
	s_cmp_lt_u32 s82, s66                                      // 000000012FC4: BF0A4252
	s_cselect_b32 s21, s36, s60                                // 000000012FC8: 85153C24
	s_mov_b64 exec, s[20:21]                                   // 000000012FCC: BEFE0114
	global_atomic_add_f32 v6, v191, s[8:9] offset:8            // 000000012FD0: DD348008 0008BF06
	global_atomic_add_f32 v6, v195, s[8:9] offset:264          // 000000012FD8: DD348108 0008C306
	global_atomic_add_f32 v6, v199, s[8:9] offset:520          // 000000012FE0: DD348208 0008C706
	global_atomic_add_f32 v6, v203, s[8:9] offset:776          // 000000012FE8: DD348308 0008CB06
	global_atomic_add_f32 v6, v207, s[8:9] offset:1032         // 000000012FF0: DD348408 0008CF06
	global_atomic_add_f32 v6, v211, s[8:9] offset:1288         // 000000012FF8: DD348508 0008D306
	global_atomic_add_f32 v6, v215, s[8:9] offset:1544         // 000000013000: DD348608 0008D706
	global_atomic_add_f32 v6, v219, s[8:9] offset:1800         // 000000013008: DD348708 0008DB06
	s_mov_b64 exec, s[36:37]                                   // 000000013010: BEFE0124
	v_mov_b32_e32 v6, v47                                      // 000000013014: 7E0C032F
	s_mov_b64 s[60:61], 0                                      // 000000013018: BEBC0180
	v_readlane_b32 s82, v3, 8                                  // 00000001301C: D2890052 00011103
	s_and_b32 s82, s82, 0xffffff                               // 000000013024: 8652FF52 00FFFFFF
	s_cmp_lt_u32 s82, s66                                      // 00000001302C: BF0A4252
	s_cselect_b32 s20, s36, s60                                // 000000013030: 85143C24
	v_readlane_b32 s82, v3, 9                                  // 000000013034: D2890052 00011303
	s_and_b32 s82, s82, 0xffffff                               // 00000001303C: 8652FF52 00FFFFFF
	s_cmp_lt_u32 s82, s66                                      // 000000013044: BF0A4252
	s_cselect_b32 s21, s36, s60                                // 000000013048: 85153C24
	s_mov_b64 exec, s[20:21]                                   // 00000001304C: BEFE0114
	global_atomic_add_f32 v6, v222, s[8:9] offset:8            // 000000013050: DD348008 0008DE06
	global_atomic_add_f32 v6, v226, s[8:9] offset:264          // 000000013058: DD348108 0008E206
	global_atomic_add_f32 v6, v230, s[8:9] offset:520          // 000000013060: DD348208 0008E606
	global_atomic_add_f32 v6, v234, s[8:9] offset:776          // 000000013068: DD348308 0008EA06
	global_atomic_add_f32 v6, v238, s[8:9] offset:1032         // 000000013070: DD348408 0008EE06
	global_atomic_add_f32 v6, v242, s[8:9] offset:1288         // 000000013078: DD348508 0008F206
	global_atomic_add_f32 v6, v246, s[8:9] offset:1544         // 000000013080: DD348608 0008F606
	global_atomic_add_f32 v6, v250, s[8:9] offset:1800         // 000000013088: DD348708 0008FA06
	s_mov_b64 exec, s[36:37]                                   // 000000013090: BEFE0124
	v_mov_b32_e32 v6, v48                                      // 000000013094: 7E0C0330
	s_mov_b64 s[60:61], 0                                      // 000000013098: BEBC0180
	v_readlane_b32 s82, v3, 10                                 // 00000001309C: D2890052 00011503
	s_and_b32 s82, s82, 0xffffff                               // 0000000130A4: 8652FF52 00FFFFFF
	s_cmp_lt_u32 s82, s66                                      // 0000000130AC: BF0A4252
	s_cselect_b32 s20, s36, s60                                // 0000000130B0: 85143C24
	v_readlane_b32 s82, v3, 11                                 // 0000000130B4: D2890052 00011703
	s_and_b32 s82, s82, 0xffffff                               // 0000000130BC: 8652FF52 00FFFFFF
	s_cmp_lt_u32 s82, s66                                      // 0000000130C4: BF0A4252
	s_cselect_b32 s21, s36, s60                                // 0000000130C8: 85153C24
	s_mov_b64 exec, s[20:21]                                   // 0000000130CC: BEFE0114
	global_atomic_add_f32 v6, v223, s[8:9] offset:8            // 0000000130D0: DD348008 0008DF06
	global_atomic_add_f32 v6, v227, s[8:9] offset:264          // 0000000130D8: DD348108 0008E306
	global_atomic_add_f32 v6, v231, s[8:9] offset:520          // 0000000130E0: DD348208 0008E706
	global_atomic_add_f32 v6, v235, s[8:9] offset:776          // 0000000130E8: DD348308 0008EB06
	global_atomic_add_f32 v6, v239, s[8:9] offset:1032         // 0000000130F0: DD348408 0008EF06
	global_atomic_add_f32 v6, v243, s[8:9] offset:1288         // 0000000130F8: DD348508 0008F306
	global_atomic_add_f32 v6, v247, s[8:9] offset:1544         // 000000013100: DD348608 0008F706
	global_atomic_add_f32 v6, v251, s[8:9] offset:1800         // 000000013108: DD348708 0008FB06
	s_mov_b64 exec, s[36:37]                                   // 000000013110: BEFE0124
	s_branch label_41C9                                        // 000000013114: BF820000

0000000000013118 <label_41C9>:
	s_waitcnt vmcnt(0) expcnt(0) lgkmcnt(0)                    // 000000013118: BF8C0000
	s_endpgm                                                   // 00000001311C: BF810000
